;; amdgpu-corpus repo=ROCm/rocFFT kind=compiled arch=gfx906 opt=O3
	.text
	.amdgcn_target "amdgcn-amd-amdhsa--gfx906"
	.amdhsa_code_object_version 6
	.protected	fft_rtc_back_len1326_factors_17_6_13_wgs_204_tpt_102_halfLds_dp_ip_CI_unitstride_sbrr_R2C_dirReg ; -- Begin function fft_rtc_back_len1326_factors_17_6_13_wgs_204_tpt_102_halfLds_dp_ip_CI_unitstride_sbrr_R2C_dirReg
	.globl	fft_rtc_back_len1326_factors_17_6_13_wgs_204_tpt_102_halfLds_dp_ip_CI_unitstride_sbrr_R2C_dirReg
	.p2align	8
	.type	fft_rtc_back_len1326_factors_17_6_13_wgs_204_tpt_102_halfLds_dp_ip_CI_unitstride_sbrr_R2C_dirReg,@function
fft_rtc_back_len1326_factors_17_6_13_wgs_204_tpt_102_halfLds_dp_ip_CI_unitstride_sbrr_R2C_dirReg: ; @fft_rtc_back_len1326_factors_17_6_13_wgs_204_tpt_102_halfLds_dp_ip_CI_unitstride_sbrr_R2C_dirReg
; %bb.0:
	s_mov_b64 s[62:63], s[2:3]
	s_mov_b64 s[60:61], s[0:1]
	s_load_dwordx2 s[2:3], s[4:5], 0x50
	s_load_dwordx4 s[8:11], s[4:5], 0x0
	s_load_dwordx2 s[12:13], s[4:5], 0x18
	v_mul_u32_u24_e32 v1, 0x283, v0
	s_add_u32 s60, s60, s7
	v_lshrrev_b32_e32 v9, 16, v1
	s_waitcnt lgkmcnt(0)
	v_cmp_lt_u64_e64 s[0:1], s[10:11], 2
	v_mov_b32_e32 v3, 0
	v_mov_b32_e32 v1, 0
	s_addc_u32 s61, s61, 0
	v_lshl_add_u32 v5, s6, 1, v9
	v_mov_b32_e32 v6, v3
	s_and_b64 vcc, exec, s[0:1]
	v_mov_b32_e32 v2, 0
	s_cbranch_vccnz .LBB0_8
; %bb.1:
	s_load_dwordx2 s[0:1], s[4:5], 0x10
	s_add_u32 s6, s12, 8
	s_addc_u32 s7, s13, 0
	v_mov_b32_e32 v1, 0
	v_mov_b32_e32 v2, 0
	s_waitcnt lgkmcnt(0)
	s_add_u32 s14, s0, 8
	s_addc_u32 s15, s1, 0
	s_mov_b64 s[16:17], 1
.LBB0_2:                                ; =>This Inner Loop Header: Depth=1
	s_load_dwordx2 s[18:19], s[14:15], 0x0
                                        ; implicit-def: $vgpr7_vgpr8
	s_waitcnt lgkmcnt(0)
	v_or_b32_e32 v4, s19, v6
	v_cmp_ne_u64_e32 vcc, 0, v[3:4]
	s_and_saveexec_b64 s[0:1], vcc
	s_xor_b64 s[20:21], exec, s[0:1]
	s_cbranch_execz .LBB0_4
; %bb.3:                                ;   in Loop: Header=BB0_2 Depth=1
	v_cvt_f32_u32_e32 v4, s18
	v_cvt_f32_u32_e32 v7, s19
	s_sub_u32 s0, 0, s18
	s_subb_u32 s1, 0, s19
	v_mac_f32_e32 v4, 0x4f800000, v7
	v_rcp_f32_e32 v4, v4
	v_mul_f32_e32 v4, 0x5f7ffffc, v4
	v_mul_f32_e32 v7, 0x2f800000, v4
	v_trunc_f32_e32 v7, v7
	v_mac_f32_e32 v4, 0xcf800000, v7
	v_cvt_u32_f32_e32 v7, v7
	v_cvt_u32_f32_e32 v4, v4
	v_mul_lo_u32 v8, s0, v7
	v_mul_hi_u32 v10, s0, v4
	v_mul_lo_u32 v12, s1, v4
	v_mul_lo_u32 v11, s0, v4
	v_add_u32_e32 v8, v10, v8
	v_add_u32_e32 v8, v8, v12
	v_mul_hi_u32 v10, v4, v11
	v_mul_lo_u32 v12, v4, v8
	v_mul_hi_u32 v14, v4, v8
	v_mul_hi_u32 v13, v7, v11
	v_mul_lo_u32 v11, v7, v11
	v_mul_hi_u32 v15, v7, v8
	v_add_co_u32_e32 v10, vcc, v10, v12
	v_addc_co_u32_e32 v12, vcc, 0, v14, vcc
	v_mul_lo_u32 v8, v7, v8
	v_add_co_u32_e32 v10, vcc, v10, v11
	v_addc_co_u32_e32 v10, vcc, v12, v13, vcc
	v_addc_co_u32_e32 v11, vcc, 0, v15, vcc
	v_add_co_u32_e32 v8, vcc, v10, v8
	v_addc_co_u32_e32 v10, vcc, 0, v11, vcc
	v_add_co_u32_e32 v4, vcc, v4, v8
	v_addc_co_u32_e32 v7, vcc, v7, v10, vcc
	v_mul_lo_u32 v8, s0, v7
	v_mul_hi_u32 v10, s0, v4
	v_mul_lo_u32 v11, s1, v4
	v_mul_lo_u32 v12, s0, v4
	v_add_u32_e32 v8, v10, v8
	v_add_u32_e32 v8, v8, v11
	v_mul_lo_u32 v13, v4, v8
	v_mul_hi_u32 v14, v4, v12
	v_mul_hi_u32 v15, v4, v8
	;; [unrolled: 1-line block ×3, first 2 shown]
	v_mul_lo_u32 v12, v7, v12
	v_mul_hi_u32 v10, v7, v8
	v_add_co_u32_e32 v13, vcc, v14, v13
	v_addc_co_u32_e32 v14, vcc, 0, v15, vcc
	v_mul_lo_u32 v8, v7, v8
	v_add_co_u32_e32 v12, vcc, v13, v12
	v_addc_co_u32_e32 v11, vcc, v14, v11, vcc
	v_addc_co_u32_e32 v10, vcc, 0, v10, vcc
	v_add_co_u32_e32 v8, vcc, v11, v8
	v_addc_co_u32_e32 v10, vcc, 0, v10, vcc
	v_add_co_u32_e32 v4, vcc, v4, v8
	v_addc_co_u32_e32 v10, vcc, v7, v10, vcc
	v_mad_u64_u32 v[7:8], s[0:1], v5, v10, 0
	v_mul_hi_u32 v11, v5, v4
	v_add_co_u32_e32 v12, vcc, v11, v7
	v_addc_co_u32_e32 v13, vcc, 0, v8, vcc
	v_mad_u64_u32 v[7:8], s[0:1], v6, v4, 0
	v_mad_u64_u32 v[10:11], s[0:1], v6, v10, 0
	v_add_co_u32_e32 v4, vcc, v12, v7
	v_addc_co_u32_e32 v4, vcc, v13, v8, vcc
	v_addc_co_u32_e32 v7, vcc, 0, v11, vcc
	v_add_co_u32_e32 v4, vcc, v4, v10
	v_addc_co_u32_e32 v10, vcc, 0, v7, vcc
	v_mul_lo_u32 v11, s19, v4
	v_mul_lo_u32 v12, s18, v10
	v_mad_u64_u32 v[7:8], s[0:1], s18, v4, 0
	v_add3_u32 v8, v8, v12, v11
	v_sub_u32_e32 v11, v6, v8
	v_mov_b32_e32 v12, s19
	v_sub_co_u32_e32 v7, vcc, v5, v7
	v_subb_co_u32_e64 v11, s[0:1], v11, v12, vcc
	v_subrev_co_u32_e64 v12, s[0:1], s18, v7
	v_subbrev_co_u32_e64 v11, s[0:1], 0, v11, s[0:1]
	v_cmp_le_u32_e64 s[0:1], s19, v11
	v_cndmask_b32_e64 v13, 0, -1, s[0:1]
	v_cmp_le_u32_e64 s[0:1], s18, v12
	v_cndmask_b32_e64 v12, 0, -1, s[0:1]
	v_cmp_eq_u32_e64 s[0:1], s19, v11
	v_cndmask_b32_e64 v11, v13, v12, s[0:1]
	v_add_co_u32_e64 v12, s[0:1], 2, v4
	v_addc_co_u32_e64 v13, s[0:1], 0, v10, s[0:1]
	v_add_co_u32_e64 v14, s[0:1], 1, v4
	v_addc_co_u32_e64 v15, s[0:1], 0, v10, s[0:1]
	v_subb_co_u32_e32 v8, vcc, v6, v8, vcc
	v_cmp_ne_u32_e64 s[0:1], 0, v11
	v_cmp_le_u32_e32 vcc, s19, v8
	v_cndmask_b32_e64 v11, v15, v13, s[0:1]
	v_cndmask_b32_e64 v13, 0, -1, vcc
	v_cmp_le_u32_e32 vcc, s18, v7
	v_cndmask_b32_e64 v7, 0, -1, vcc
	v_cmp_eq_u32_e32 vcc, s19, v8
	v_cndmask_b32_e32 v7, v13, v7, vcc
	v_cmp_ne_u32_e32 vcc, 0, v7
	v_cndmask_b32_e64 v7, v14, v12, s[0:1]
	v_cndmask_b32_e32 v8, v10, v11, vcc
	v_cndmask_b32_e32 v7, v4, v7, vcc
.LBB0_4:                                ;   in Loop: Header=BB0_2 Depth=1
	s_andn2_saveexec_b64 s[0:1], s[20:21]
	s_cbranch_execz .LBB0_6
; %bb.5:                                ;   in Loop: Header=BB0_2 Depth=1
	v_cvt_f32_u32_e32 v4, s18
	s_sub_i32 s20, 0, s18
	v_rcp_iflag_f32_e32 v4, v4
	v_mul_f32_e32 v4, 0x4f7ffffe, v4
	v_cvt_u32_f32_e32 v4, v4
	v_mul_lo_u32 v7, s20, v4
	v_mul_hi_u32 v7, v4, v7
	v_add_u32_e32 v4, v4, v7
	v_mul_hi_u32 v4, v5, v4
	v_mul_lo_u32 v7, v4, s18
	v_add_u32_e32 v8, 1, v4
	v_sub_u32_e32 v7, v5, v7
	v_subrev_u32_e32 v10, s18, v7
	v_cmp_le_u32_e32 vcc, s18, v7
	v_cndmask_b32_e32 v7, v7, v10, vcc
	v_cndmask_b32_e32 v4, v4, v8, vcc
	v_add_u32_e32 v8, 1, v4
	v_cmp_le_u32_e32 vcc, s18, v7
	v_cndmask_b32_e32 v7, v4, v8, vcc
	v_mov_b32_e32 v8, v3
.LBB0_6:                                ;   in Loop: Header=BB0_2 Depth=1
	s_or_b64 exec, exec, s[0:1]
	v_mul_lo_u32 v4, v8, s18
	v_mul_lo_u32 v12, v7, s19
	v_mad_u64_u32 v[10:11], s[0:1], v7, s18, 0
	s_load_dwordx2 s[0:1], s[6:7], 0x0
	s_add_u32 s16, s16, 1
	v_add3_u32 v4, v11, v12, v4
	v_sub_co_u32_e32 v5, vcc, v5, v10
	v_subb_co_u32_e32 v4, vcc, v6, v4, vcc
	s_waitcnt lgkmcnt(0)
	v_mul_lo_u32 v4, s0, v4
	v_mul_lo_u32 v6, s1, v5
	v_mad_u64_u32 v[1:2], s[0:1], s0, v5, v[1:2]
	s_addc_u32 s17, s17, 0
	s_add_u32 s6, s6, 8
	v_add3_u32 v2, v6, v2, v4
	v_mov_b32_e32 v4, s10
	v_mov_b32_e32 v5, s11
	s_addc_u32 s7, s7, 0
	v_cmp_ge_u64_e32 vcc, s[16:17], v[4:5]
	s_add_u32 s14, s14, 8
	s_addc_u32 s15, s15, 0
	s_cbranch_vccnz .LBB0_9
; %bb.7:                                ;   in Loop: Header=BB0_2 Depth=1
	v_mov_b32_e32 v5, v7
	v_mov_b32_e32 v6, v8
	s_branch .LBB0_2
.LBB0_8:
	v_mov_b32_e32 v8, v6
	v_mov_b32_e32 v7, v5
.LBB0_9:
	s_lshl_b64 s[0:1], s[10:11], 3
	s_add_u32 s0, s12, s0
	s_addc_u32 s1, s13, s1
	s_load_dwordx2 s[6:7], s[0:1], 0x0
	s_load_dwordx2 s[10:11], s[4:5], 0x20
	v_and_b32_e32 v5, 1, v9
	v_mov_b32_e32 v6, 0x52f
	v_cmp_eq_u32_e32 vcc, 1, v5
	s_waitcnt lgkmcnt(0)
	v_mul_lo_u32 v3, s6, v8
	v_mul_lo_u32 v4, s7, v7
	v_mad_u64_u32 v[1:2], s[0:1], s6, v7, v[1:2]
	s_mov_b32 s0, 0x2828283
	v_add3_u32 v2, v4, v2, v3
	v_mul_hi_u32 v3, v0, s0
	v_cndmask_b32_e32 v4, 0, v6, vcc
	v_cmp_gt_u64_e64 s[0:1], s[10:11], v[7:8]
	v_lshlrev_b64 v[219:220], 4, v[1:2]
	v_mul_u32_u24_e32 v3, 0x66, v3
	v_sub_u32_e32 v100, v0, v3
	v_lshlrev_b32_e32 v227, 4, v4
	v_lshlrev_b32_e32 v221, 4, v100
	s_and_saveexec_b64 s[4:5], s[0:1]
	s_cbranch_execz .LBB0_11
; %bb.10:
	v_mov_b32_e32 v101, 0
	v_mov_b32_e32 v0, s3
	v_add_co_u32_e32 v2, vcc, s2, v219
	v_addc_co_u32_e32 v3, vcc, v0, v220, vcc
	v_lshlrev_b64 v[0:1], 4, v[100:101]
	s_movk_i32 s6, 0x1000
	v_add_co_u32_e32 v24, vcc, v2, v0
	v_addc_co_u32_e32 v25, vcc, v3, v1, vcc
	v_add_co_u32_e32 v26, vcc, s6, v24
	v_addc_co_u32_e32 v27, vcc, 0, v25, vcc
	s_movk_i32 s6, 0x2000
	v_add_co_u32_e32 v52, vcc, s6, v24
	s_movk_i32 s7, 0x3000
	v_addc_co_u32_e32 v53, vcc, 0, v25, vcc
	v_add_co_u32_e32 v54, vcc, s7, v24
	v_addc_co_u32_e32 v55, vcc, 0, v25, vcc
	v_add_co_u32_e32 v56, vcc, 0x4000, v24
	global_load_dwordx4 v[0:3], v[24:25], off
	global_load_dwordx4 v[4:7], v[24:25], off offset:1632
	global_load_dwordx4 v[8:11], v[24:25], off offset:3264
	;; [unrolled: 1-line block ×5, first 2 shown]
	v_addc_co_u32_e32 v57, vcc, 0, v25, vcc
	global_load_dwordx4 v[24:27], v[52:53], off offset:1600
	global_load_dwordx4 v[28:31], v[52:53], off offset:3232
	global_load_dwordx4 v[32:35], v[54:55], off offset:768
	global_load_dwordx4 v[36:39], v[54:55], off offset:2400
	global_load_dwordx4 v[40:43], v[54:55], off offset:4032
	global_load_dwordx4 v[44:47], v[56:57], off offset:1568
	global_load_dwordx4 v[48:51], v[56:57], off offset:3200
	v_add3_u32 v52, 0, v227, v221
	s_waitcnt vmcnt(12)
	ds_write_b128 v52, v[0:3]
	s_waitcnt vmcnt(11)
	ds_write_b128 v52, v[4:7] offset:1632
	s_waitcnt vmcnt(10)
	ds_write_b128 v52, v[8:11] offset:3264
	;; [unrolled: 2-line block ×12, first 2 shown]
.LBB0_11:
	s_or_b64 exec, exec, s[4:5]
	v_add3_u32 v218, 0, v221, v227
	s_waitcnt lgkmcnt(0)
	s_barrier
	ds_read_b128 v[20:23], v218 offset:19968
	ds_read_b128 v[56:59], v218 offset:1248
	v_add_u32_e32 v222, 0, v227
	v_add_u32_e32 v113, v222, v221
	ds_read_b128 v[28:31], v113
	ds_read_b128 v[24:27], v218 offset:18720
	ds_read_b128 v[68:71], v218 offset:2496
	s_waitcnt lgkmcnt(3)
	v_add_f64 v[130:131], v[58:59], -v[22:23]
	v_add_f64 v[144:145], v[58:59], v[22:23]
	s_mov_b32 s12, 0x2a9d6da3
	s_mov_b32 s10, 0x75d4884
	s_mov_b32 s13, 0xbfe58eea
	s_mov_b32 s11, 0x3fe7a5f6
	s_waitcnt lgkmcnt(0)
	v_add_f64 v[158:159], v[70:71], -v[26:27]
	v_add_f64 v[146:147], v[70:71], v[26:27]
	v_mul_f64 v[8:9], v[130:131], s[12:13]
	v_mul_f64 v[10:11], v[144:145], s[10:11]
	ds_read_b128 v[60:63], v218 offset:3744
	ds_read_b128 v[32:35], v218 offset:17472
	s_mov_b32 s20, 0xeb564b22
	s_mov_b32 s18, 0x3259b75e
	;; [unrolled: 1-line block ×4, first 2 shown]
	s_waitcnt lgkmcnt(0)
	v_add_f64 v[174:175], v[62:63], -v[34:35]
	ds_read_b128 v[36:39], v218 offset:16224
	ds_read_b128 v[84:87], v218 offset:4992
	v_add_f64 v[178:179], v[62:63], v[34:35]
	ds_read_b128 v[80:83], v218 offset:6240
	ds_read_b128 v[40:43], v218 offset:14976
	;; [unrolled: 1-line block ×8, first 2 shown]
	buffer_store_dword v8, off, s[60:63], 0 ; 4-byte Folded Spill
	s_nop 0
	buffer_store_dword v9, off, s[60:63], 0 offset:4 ; 4-byte Folded Spill
	v_mul_f64 v[12:13], v[158:159], s[20:21]
	buffer_store_dword v10, off, s[60:63], 0 offset:112 ; 4-byte Folded Spill
	s_nop 0
	buffer_store_dword v11, off, s[60:63], 0 offset:116 ; 4-byte Folded Spill
	v_mul_f64 v[14:15], v[146:147], s[18:19]
	s_mov_b32 s28, 0x6ed5f1bb
	s_mov_b32 s26, 0x6c9a05f6
	;; [unrolled: 1-line block ×4, first 2 shown]
	buffer_store_dword v12, off, s[60:63], 0 offset:8 ; 4-byte Folded Spill
	s_nop 0
	buffer_store_dword v13, off, s[60:63], 0 offset:12 ; 4-byte Folded Spill
	buffer_store_dword v14, off, s[60:63], 0 offset:120 ; 4-byte Folded Spill
	s_nop 0
	buffer_store_dword v15, off, s[60:63], 0 offset:124 ; 4-byte Folded Spill
	v_mul_f64 v[16:17], v[174:175], s[26:27]
	v_mul_f64 v[18:19], v[178:179], s[28:29]
	buffer_store_dword v16, off, s[60:63], 0 offset:16 ; 4-byte Folded Spill
	s_nop 0
	buffer_store_dword v17, off, s[60:63], 0 offset:20 ; 4-byte Folded Spill
	buffer_store_dword v18, off, s[60:63], 0 offset:128 ; 4-byte Folded Spill
	s_nop 0
	buffer_store_dword v19, off, s[60:63], 0 offset:132 ; 4-byte Folded Spill
	v_add_f64 v[114:115], v[56:57], v[20:21]
	v_add_f64 v[128:129], v[56:57], -v[20:21]
	v_add_f64 v[126:127], v[68:69], v[24:25]
	v_add_f64 v[138:139], v[68:69], -v[24:25]
	v_add_f64 v[136:137], v[60:61], v[32:33]
	s_waitcnt lgkmcnt(8)
	v_add_f64 v[198:199], v[86:87], -v[38:39]
	v_add_f64 v[152:153], v[60:61], -v[32:33]
	v_add_f64 v[194:195], v[86:87], v[38:39]
	s_mov_b32 s40, 0x7faef3
	s_mov_b32 s42, 0xacd6c6b4
	;; [unrolled: 1-line block ×4, first 2 shown]
	v_add_f64 v[148:149], v[84:85], v[36:37]
	v_add_f64 v[156:157], v[84:85], -v[36:37]
	s_waitcnt lgkmcnt(6)
	v_add_f64 v[214:215], v[82:83], -v[42:43]
	v_add_f64 v[206:207], v[82:83], v[42:43]
	s_mov_b32 s4, 0x5d8e7cdc
	s_mov_b32 s5, 0xbfd71e95
	;; [unrolled: 1-line block ×4, first 2 shown]
	v_mul_f64 v[98:99], v[130:131], s[4:5]
	s_mov_b32 s31, 0xbfeb34fa
	s_mov_b32 s39, 0x3fe0d888
	;; [unrolled: 1-line block ×4, first 2 shown]
	v_mul_f64 v[101:102], v[158:159], s[12:13]
	v_mul_f64 v[105:106], v[144:145], s[6:7]
	;; [unrolled: 1-line block ×3, first 2 shown]
	v_fma_f64 v[0:1], v[114:115], s[6:7], -v[98:99]
	s_mov_b32 s14, 0x7c9e640b
	s_mov_b32 s16, 0x2b2883cd
	;; [unrolled: 1-line block ×4, first 2 shown]
	v_fma_f64 v[2:3], v[126:127], s[10:11], -v[101:102]
	v_fma_f64 v[4:5], v[128:129], s[4:5], v[105:106]
	v_mul_f64 v[109:110], v[174:175], s[14:15]
	v_add_f64 v[0:1], v[28:29], v[0:1]
	v_mul_f64 v[232:233], v[178:179], s[16:17]
	v_mul_f64 v[225:226], v[198:199], s[20:21]
	;; [unrolled: 1-line block ×3, first 2 shown]
	s_mov_b32 s24, 0x923c349f
	s_mov_b32 s25, 0xbfeec746
	v_add_f64 v[168:169], v[80:81], v[40:41]
	v_fma_f64 v[6:7], v[136:137], s[16:17], -v[109:110]
	v_add_f64 v[0:1], v[2:3], v[0:1]
	v_add_f64 v[2:3], v[30:31], v[4:5]
	v_fma_f64 v[4:5], v[138:139], s[12:13], v[223:224]
	v_mul_f64 v[238:239], v[214:215], s[24:25]
	s_waitcnt lgkmcnt(4)
	v_add_f64 v[230:231], v[66:67], -v[46:47]
	s_mov_b32 s22, 0xc61f0d01
	s_mov_b32 s23, 0xbfd183b1
	v_add_f64 v[172:173], v[80:81], -v[40:41]
	v_add_f64 v[0:1], v[6:7], v[0:1]
	v_fma_f64 v[6:7], v[148:149], s[18:19], -v[225:226]
	v_add_f64 v[2:3], v[4:5], v[2:3]
	v_fma_f64 v[4:5], v[152:153], s[14:15], v[232:233]
	v_mul_f64 v[240:241], v[206:207], s[22:23]
	v_fma_f64 v[8:9], v[114:115], s[10:11], -v[8:9]
	v_add_f64 v[228:229], v[66:67], v[46:47]
	v_fma_f64 v[10:11], v[128:129], s[12:13], v[10:11]
	v_add_f64 v[182:183], v[64:65], v[44:45]
	v_add_f64 v[0:1], v[6:7], v[0:1]
	v_mul_f64 v[244:245], v[230:231], s[26:27]
	v_add_f64 v[2:3], v[4:5], v[2:3]
	v_fma_f64 v[4:5], v[156:157], s[20:21], v[234:235]
	v_add_f64 v[8:9], v[28:29], v[8:9]
	v_fma_f64 v[12:13], v[126:127], s[18:19], -v[12:13]
	v_add_f64 v[10:11], v[30:31], v[10:11]
	v_fma_f64 v[14:15], v[138:139], s[20:21], v[14:15]
	s_waitcnt lgkmcnt(2)
	v_add_f64 v[242:243], v[50:51], -v[54:55]
	s_mov_b32 s35, 0xbfe0d888
	s_mov_b32 s34, s38
	v_add_f64 v[2:3], v[4:5], v[2:3]
	v_fma_f64 v[4:5], v[168:169], s[22:23], -v[238:239]
	v_add_f64 v[8:9], v[12:13], v[8:9]
	v_fma_f64 v[6:7], v[172:173], s[24:25], v[240:241]
	v_add_f64 v[10:11], v[14:15], v[10:11]
	v_fma_f64 v[12:13], v[136:137], s[28:29], -v[16:17]
	v_fma_f64 v[14:15], v[152:153], s[26:27], v[18:19]
	v_mul_f64 v[16:17], v[198:199], s[42:43]
	v_mul_f64 v[18:19], v[194:195], s[40:41]
	buffer_store_dword v16, off, s[60:63], 0 offset:24 ; 4-byte Folded Spill
	s_nop 0
	buffer_store_dword v17, off, s[60:63], 0 offset:28 ; 4-byte Folded Spill
	buffer_store_dword v18, off, s[60:63], 0 offset:136 ; 4-byte Folded Spill
	s_nop 0
	buffer_store_dword v19, off, s[60:63], 0 offset:140 ; 4-byte Folded Spill
	v_add_f64 v[8:9], v[12:13], v[8:9]
	v_add_f64 v[10:11], v[14:15], v[10:11]
	v_add_f64 v[184:185], v[64:65], -v[44:45]
	v_mul_f64 v[246:247], v[228:229], s[28:29]
	v_add_f64 v[0:1], v[4:5], v[0:1]
	v_fma_f64 v[4:5], v[182:183], s[28:29], -v[244:245]
	v_add_f64 v[236:237], v[50:51], v[54:55]
	v_add_f64 v[188:189], v[48:49], v[52:53]
	v_mul_f64 v[248:249], v[242:243], s[34:35]
	s_waitcnt lgkmcnt(0)
	v_add_f64 v[107:108], v[78:79], -v[74:75]
	v_add_f64 v[2:3], v[6:7], v[2:3]
	v_fma_f64 v[6:7], v[184:185], s[26:27], v[246:247]
	v_add_f64 v[190:191], v[48:49], -v[52:53]
	v_add_f64 v[0:1], v[4:5], v[0:1]
	v_mul_f64 v[250:251], v[236:237], s[30:31]
	v_add_f64 v[103:104], v[78:79], v[74:75]
	v_fma_f64 v[4:5], v[188:189], s[30:31], -v[248:249]
	v_add_f64 v[210:211], v[76:77], v[72:73]
	v_mul_f64 v[252:253], v[107:108], s[42:43]
	v_add_f64 v[2:3], v[6:7], v[2:3]
	v_add_f64 v[212:213], v[76:77], -v[72:73]
	s_mov_b32 s45, 0x3feec746
	v_fma_f64 v[6:7], v[190:191], s[34:35], v[250:251]
	v_mul_f64 v[254:255], v[103:104], s[40:41]
	v_add_f64 v[0:1], v[4:5], v[0:1]
	s_mov_b32 s44, s24
	v_fma_f64 v[4:5], v[210:211], s[40:41], -v[252:253]
	v_mul_f64 v[88:89], v[158:159], s[26:27]
	s_mov_b32 s51, 0x3fc7851a
	s_mov_b32 s50, s42
	v_add_f64 v[2:3], v[6:7], v[2:3]
	v_fma_f64 v[6:7], v[212:213], s[42:43], v[254:255]
	v_mul_f64 v[90:91], v[146:147], s[28:29]
	v_mul_f64 v[92:93], v[174:175], s[50:51]
	v_add_f64 v[0:1], v[4:5], v[0:1]
	v_mul_f64 v[94:95], v[178:179], s[40:41]
	s_mov_b32 s47, 0x3feca52d
	s_mov_b32 s46, s14
	v_mul_f64 v[118:119], v[144:145], s[16:17]
	v_add_f64 v[2:3], v[6:7], v[2:3]
	s_mov_b32 s53, 0x3fe58eea
	s_mov_b32 s52, s12
	v_mul_f64 v[116:117], v[198:199], s[44:45]
	s_mov_b32 s49, 0x3fd71e95
	s_mov_b32 s48, s4
	v_mul_f64 v[111:112], v[158:159], s[42:43]
	v_mul_f64 v[132:133], v[144:145], s[18:19]
	;; [unrolled: 1-line block ×10, first 2 shown]
	s_mov_b32 s55, 0x3fe9895b
	s_mov_b32 s54, s26
	v_mul_f64 v[150:151], v[242:243], s[54:55]
	v_mul_f64 v[162:163], v[236:237], s[28:29]
	;; [unrolled: 1-line block ×9, first 2 shown]
	s_mov_b32 s57, 0x3fefdd0d
	s_mov_b32 s56, s20
	v_mul_f64 v[180:181], v[230:231], s[56:57]
	v_mul_f64 v[204:205], v[228:229], s[18:19]
	;; [unrolled: 1-line block ×6, first 2 shown]
	s_movk_i32 s33, 0x4e
	v_cmp_gt_u32_e32 vcc, s33, v100
	v_fma_f64 v[12:13], v[148:149], s[40:41], -v[16:17]
	v_fma_f64 v[14:15], v[156:157], s[42:43], v[18:19]
	v_mul_f64 v[16:17], v[214:215], s[38:39]
	v_mul_f64 v[18:19], v[206:207], s[30:31]
	buffer_store_dword v16, off, s[60:63], 0 offset:32 ; 4-byte Folded Spill
	s_nop 0
	buffer_store_dword v17, off, s[60:63], 0 offset:36 ; 4-byte Folded Spill
	buffer_store_dword v18, off, s[60:63], 0 offset:144 ; 4-byte Folded Spill
	s_nop 0
	buffer_store_dword v19, off, s[60:63], 0 offset:148 ; 4-byte Folded Spill
	v_add_f64 v[4:5], v[12:13], v[8:9]
	v_mul_f64 v[12:13], v[130:131], s[14:15]
	v_add_f64 v[6:7], v[14:15], v[10:11]
	buffer_store_dword v12, off, s[60:63], 0 offset:160 ; 4-byte Folded Spill
	s_nop 0
	buffer_store_dword v13, off, s[60:63], 0 offset:164 ; 4-byte Folded Spill
	v_fma_f64 v[14:15], v[128:129], s[14:15], v[118:119]
	v_add_f64 v[14:15], v[30:31], v[14:15]
	v_fma_f64 v[8:9], v[168:169], s[30:31], -v[16:17]
	v_fma_f64 v[10:11], v[172:173], s[38:39], v[18:19]
	v_mul_f64 v[16:17], v[230:231], s[44:45]
	v_mul_f64 v[18:19], v[228:229], s[22:23]
	buffer_store_dword v16, off, s[60:63], 0 offset:40 ; 4-byte Folded Spill
	s_nop 0
	buffer_store_dword v17, off, s[60:63], 0 offset:44 ; 4-byte Folded Spill
	buffer_store_dword v18, off, s[60:63], 0 offset:152 ; 4-byte Folded Spill
	s_nop 0
	buffer_store_dword v19, off, s[60:63], 0 offset:156 ; 4-byte Folded Spill
	;; [unrolled: 3-line block ×5, first 2 shown]
	v_fma_f64 v[12:13], v[114:115], s[16:17], -v[12:13]
	v_add_f64 v[4:5], v[8:9], v[4:5]
	v_add_f64 v[6:7], v[10:11], v[6:7]
	buffer_store_dword v94, off, s[60:63], 0 offset:200 ; 4-byte Folded Spill
	s_nop 0
	buffer_store_dword v95, off, s[60:63], 0 offset:204 ; 4-byte Folded Spill
	v_add_f64 v[12:13], v[28:29], v[12:13]
	v_fma_f64 v[8:9], v[182:183], s[22:23], -v[16:17]
	v_fma_f64 v[10:11], v[184:185], s[44:45], v[18:19]
	v_fma_f64 v[16:17], v[126:127], s[28:29], -v[88:89]
	v_fma_f64 v[18:19], v[138:139], s[26:27], v[90:91]
	v_mul_f64 v[88:89], v[242:243], s[46:47]
	v_mul_f64 v[90:91], v[236:237], s[16:17]
	buffer_store_dword v88, off, s[60:63], 0 offset:48 ; 4-byte Folded Spill
	s_nop 0
	buffer_store_dword v89, off, s[60:63], 0 offset:52 ; 4-byte Folded Spill
	v_add_f64 v[12:13], v[16:17], v[12:13]
	v_fma_f64 v[16:17], v[136:137], s[40:41], -v[92:93]
	v_mul_f64 v[92:93], v[194:195], s[22:23]
	buffer_store_dword v90, off, s[60:63], 0 offset:64 ; 4-byte Folded Spill
	s_nop 0
	buffer_store_dword v91, off, s[60:63], 0 offset:68 ; 4-byte Folded Spill
	buffer_store_dword v92, off, s[60:63], 0 offset:208 ; 4-byte Folded Spill
	s_nop 0
	buffer_store_dword v93, off, s[60:63], 0 offset:212 ; 4-byte Folded Spill
	v_add_f64 v[14:15], v[18:19], v[14:15]
	v_fma_f64 v[18:19], v[152:153], s[50:51], v[94:95]
	v_add_f64 v[12:13], v[16:17], v[12:13]
	v_fma_f64 v[16:17], v[148:149], s[22:23], -v[116:117]
	v_add_f64 v[4:5], v[8:9], v[4:5]
	v_add_f64 v[6:7], v[10:11], v[6:7]
	v_mul_f64 v[94:95], v[206:207], s[10:11]
	v_add_f64 v[14:15], v[18:19], v[14:15]
	v_add_f64 v[12:13], v[16:17], v[12:13]
	v_fma_f64 v[8:9], v[188:189], s[16:17], -v[88:89]
	v_mul_f64 v[88:89], v[107:108], s[48:49]
	v_fma_f64 v[10:11], v[190:191], s[46:47], v[90:91]
	v_mul_f64 v[90:91], v[103:104], s[6:7]
	v_add_f64 v[4:5], v[8:9], v[4:5]
	v_fma_f64 v[18:19], v[156:157], s[44:45], v[92:93]
	v_mul_f64 v[92:93], v[214:215], s[52:53]
	buffer_store_dword v92, off, s[60:63], 0 offset:184 ; 4-byte Folded Spill
	s_nop 0
	buffer_store_dword v93, off, s[60:63], 0 offset:188 ; 4-byte Folded Spill
	buffer_store_dword v94, off, s[60:63], 0 offset:216 ; 4-byte Folded Spill
	s_nop 0
	buffer_store_dword v95, off, s[60:63], 0 offset:220 ; 4-byte Folded Spill
	;; [unrolled: 3-line block ×4, first 2 shown]
	v_add_f64 v[14:15], v[18:19], v[14:15]
	v_add_f64 v[6:7], v[10:11], v[6:7]
	v_fma_f64 v[16:17], v[168:169], s[10:11], -v[92:93]
	v_mul_f64 v[92:93], v[230:231], s[4:5]
	buffer_store_dword v92, off, s[60:63], 0 offset:80 ; 4-byte Folded Spill
	s_nop 0
	buffer_store_dword v93, off, s[60:63], 0 offset:84 ; 4-byte Folded Spill
	v_fma_f64 v[18:19], v[172:173], s[52:53], v[94:95]
	v_mul_f64 v[94:95], v[228:229], s[6:7]
	v_fma_f64 v[8:9], v[210:211], s[6:7], -v[88:89]
	v_add_f64 v[12:13], v[16:17], v[12:13]
	v_mul_f64 v[88:89], v[242:243], s[20:21]
	v_fma_f64 v[10:11], v[212:213], s[48:49], v[90:91]
	buffer_store_dword v94, off, s[60:63], 0 offset:224 ; 4-byte Folded Spill
	s_nop 0
	buffer_store_dword v95, off, s[60:63], 0 offset:228 ; 4-byte Folded Spill
	v_mul_f64 v[90:91], v[236:237], s[18:19]
	v_add_f64 v[4:5], v[8:9], v[4:5]
	buffer_store_dword v88, off, s[60:63], 0 offset:88 ; 4-byte Folded Spill
	s_nop 0
	buffer_store_dword v89, off, s[60:63], 0 offset:92 ; 4-byte Folded Spill
	buffer_store_dword v90, off, s[60:63], 0 offset:232 ; 4-byte Folded Spill
	s_nop 0
	buffer_store_dword v91, off, s[60:63], 0 offset:236 ; 4-byte Folded Spill
	v_add_f64 v[14:15], v[18:19], v[14:15]
	v_add_f64 v[6:7], v[10:11], v[6:7]
	v_fma_f64 v[16:17], v[182:183], s[6:7], -v[92:93]
	v_mul_f64 v[92:93], v[144:145], s[22:23]
	v_add_f64 v[8:9], v[16:17], v[12:13]
	v_mul_f64 v[16:17], v[107:108], s[34:35]
	buffer_store_dword v16, off, s[60:63], 0 offset:96 ; 4-byte Folded Spill
	s_nop 0
	buffer_store_dword v17, off, s[60:63], 0 offset:100 ; 4-byte Folded Spill
	v_fma_f64 v[12:13], v[188:189], s[18:19], -v[88:89]
	v_fma_f64 v[18:19], v[184:185], s[4:5], v[94:95]
	v_mul_f64 v[94:95], v[146:147], s[30:31]
	v_add_f64 v[8:9], v[12:13], v[8:9]
	v_add_f64 v[10:11], v[18:19], v[14:15]
	v_mul_f64 v[18:19], v[103:104], s[30:31]
	buffer_store_dword v18, off, s[60:63], 0 offset:104 ; 4-byte Folded Spill
	s_nop 0
	buffer_store_dword v19, off, s[60:63], 0 offset:108 ; 4-byte Folded Spill
	v_fma_f64 v[14:15], v[190:191], s[20:21], v[90:91]
	v_fma_f64 v[88:89], v[138:139], s[38:39], v[94:95]
	v_add_f64 v[10:11], v[14:15], v[10:11]
	v_fma_f64 v[12:13], v[210:211], s[30:31], -v[16:17]
	v_fma_f64 v[16:17], v[138:139], s[42:43], v[134:135]
	v_add_f64 v[8:9], v[12:13], v[8:9]
	v_mul_f64 v[12:13], v[130:131], s[20:21]
	buffer_store_dword v12, off, s[60:63], 0 offset:240 ; 4-byte Folded Spill
	s_nop 0
	buffer_store_dword v13, off, s[60:63], 0 offset:244 ; 4-byte Folded Spill
	v_fma_f64 v[14:15], v[212:213], s[34:35], v[18:19]
	v_add_f64 v[10:11], v[14:15], v[10:11]
	v_fma_f64 v[14:15], v[126:127], s[40:41], -v[111:112]
	v_fma_f64 v[12:13], v[114:115], s[18:19], -v[12:13]
	v_add_f64 v[12:13], v[28:29], v[12:13]
	v_add_f64 v[12:13], v[14:15], v[12:13]
	v_fma_f64 v[14:15], v[128:129], s[20:21], v[132:133]
	v_add_f64 v[14:15], v[30:31], v[14:15]
	v_add_f64 v[14:15], v[16:17], v[14:15]
	v_fma_f64 v[16:17], v[136:137], s[22:23], -v[122:123]
	v_add_f64 v[12:13], v[16:17], v[12:13]
	v_fma_f64 v[16:17], v[152:153], s[44:45], v[142:143]
	v_add_f64 v[14:15], v[16:17], v[14:15]
	v_fma_f64 v[16:17], v[148:149], s[6:7], -v[120:121]
	v_add_f64 v[12:13], v[16:17], v[12:13]
	v_fma_f64 v[16:17], v[156:157], s[48:49], v[140:141]
	;; [unrolled: 4-line block ×3, first 2 shown]
	v_add_f64 v[14:15], v[16:17], v[14:15]
	v_mul_f64 v[16:17], v[230:231], s[34:35]
	buffer_store_dword v16, off, s[60:63], 0 offset:248 ; 4-byte Folded Spill
	s_nop 0
	buffer_store_dword v17, off, s[60:63], 0 offset:252 ; 4-byte Folded Spill
	v_fma_f64 v[16:17], v[182:183], s[30:31], -v[16:17]
	v_add_f64 v[12:13], v[16:17], v[12:13]
	v_fma_f64 v[16:17], v[184:185], s[34:35], v[160:161]
	v_add_f64 v[14:15], v[16:17], v[14:15]
	v_fma_f64 v[16:17], v[188:189], s[28:29], -v[150:151]
	v_add_f64 v[12:13], v[16:17], v[12:13]
	v_fma_f64 v[16:17], v[190:191], s[54:55], v[162:163]
	v_add_f64 v[14:15], v[16:17], v[14:15]
	v_mul_f64 v[16:17], v[107:108], s[52:53]
	buffer_store_dword v16, off, s[60:63], 0 offset:256 ; 4-byte Folded Spill
	s_nop 0
	buffer_store_dword v17, off, s[60:63], 0 offset:260 ; 4-byte Folded Spill
	s_waitcnt vmcnt(0)
	s_barrier
	v_fma_f64 v[16:17], v[210:211], s[10:11], -v[16:17]
	v_add_f64 v[16:17], v[16:17], v[12:13]
	v_fma_f64 v[12:13], v[212:213], s[52:53], v[164:165]
	v_add_f64 v[18:19], v[12:13], v[14:15]
	v_fma_f64 v[12:13], v[114:115], s[22:23], -v[166:167]
	v_fma_f64 v[14:15], v[126:127], s[30:31], -v[170:171]
	v_add_f64 v[12:13], v[28:29], v[12:13]
	v_add_f64 v[12:13], v[14:15], v[12:13]
	v_fma_f64 v[14:15], v[128:129], s[24:25], v[92:93]
	v_add_f64 v[14:15], v[30:31], v[14:15]
	v_add_f64 v[14:15], v[88:89], v[14:15]
	v_mul_f64 v[88:89], v[174:175], s[52:53]
	v_fma_f64 v[90:91], v[136:137], s[10:11], -v[88:89]
	v_add_f64 v[12:13], v[90:91], v[12:13]
	v_fma_f64 v[90:91], v[152:153], s[52:53], v[200:201]
	v_add_f64 v[14:15], v[90:91], v[14:15]
	v_fma_f64 v[90:91], v[148:149], s[16:17], -v[176:177]
	v_add_f64 v[12:13], v[90:91], v[12:13]
	v_fma_f64 v[90:91], v[156:157], s[14:15], v[196:197]
	v_add_f64 v[14:15], v[90:91], v[14:15]
	v_mul_f64 v[90:91], v[214:215], s[42:43]
	v_fma_f64 v[96:97], v[168:169], s[40:41], -v[90:91]
	v_add_f64 v[12:13], v[96:97], v[12:13]
	v_fma_f64 v[96:97], v[172:173], s[42:43], v[202:203]
	v_add_f64 v[14:15], v[96:97], v[14:15]
	v_fma_f64 v[96:97], v[182:183], s[18:19], -v[180:181]
	v_add_f64 v[12:13], v[96:97], v[12:13]
	v_fma_f64 v[96:97], v[184:185], s[56:57], v[204:205]
	v_add_f64 v[14:15], v[96:97], v[14:15]
	;; [unrolled: 4-line block ×4, first 2 shown]
	s_and_saveexec_b64 s[36:37], vcc
	s_cbranch_execz .LBB0_13
; %bb.12:
	v_mul_f64 v[96:97], v[128:129], s[42:43]
	buffer_store_dword v98, off, s[60:63], 0 offset:292 ; 4-byte Folded Spill
	s_nop 0
	buffer_store_dword v99, off, s[60:63], 0 offset:296 ; 4-byte Folded Spill
	buffer_store_dword v219, off, s[60:63], 0 offset:264 ; 4-byte Folded Spill
	s_nop 0
	buffer_store_dword v220, off, s[60:63], 0 offset:268 ; 4-byte Folded Spill
	v_mul_f64 v[219:220], v[138:139], s[48:49]
	buffer_store_dword v221, off, s[60:63], 0 offset:272 ; 4-byte Folded Spill
	buffer_store_dword v223, off, s[60:63], 0 offset:404 ; 4-byte Folded Spill
	s_nop 0
	buffer_store_dword v224, off, s[60:63], 0 offset:408 ; 4-byte Folded Spill
	buffer_store_dword v225, off, s[60:63], 0 offset:356 ; 4-byte Folded Spill
	s_nop 0
	buffer_store_dword v226, off, s[60:63], 0 offset:360 ; 4-byte Folded Spill
	v_mul_f64 v[225:226], v[158:159], s[48:49]
	v_fma_f64 v[98:99], v[144:145], s[40:41], v[96:97]
	buffer_store_dword v232, off, s[60:63], 0 offset:396 ; 4-byte Folded Spill
	s_nop 0
	buffer_store_dword v233, off, s[60:63], 0 offset:400 ; 4-byte Folded Spill
	buffer_store_dword v234, off, s[60:63], 0 offset:388 ; 4-byte Folded Spill
	s_nop 0
	buffer_store_dword v235, off, s[60:63], 0 offset:392 ; 4-byte Folded Spill
	v_fma_f64 v[221:222], v[146:147], s[6:7], v[219:220]
	buffer_store_dword v238, off, s[60:63], 0 offset:332 ; 4-byte Folded Spill
	s_nop 0
	buffer_store_dword v239, off, s[60:63], 0 offset:336 ; 4-byte Folded Spill
	buffer_store_dword v240, off, s[60:63], 0 offset:380 ; 4-byte Folded Spill
	s_nop 0
	buffer_store_dword v241, off, s[60:63], 0 offset:384 ; 4-byte Folded Spill
	;; [unrolled: 3-line block ×3, first 2 shown]
	v_fma_f64 v[232:233], v[126:127], s[6:7], -v[225:226]
	v_add_f64 v[98:99], v[30:31], v[98:99]
	buffer_store_dword v246, off, s[60:63], 0 offset:372 ; 4-byte Folded Spill
	s_nop 0
	buffer_store_dword v247, off, s[60:63], 0 offset:376 ; 4-byte Folded Spill
	buffer_store_dword v248, off, s[60:63], 0 offset:308 ; 4-byte Folded Spill
	s_nop 0
	buffer_store_dword v249, off, s[60:63], 0 offset:312 ; 4-byte Folded Spill
	;; [unrolled: 3-line block ×7, first 2 shown]
	v_add_f64 v[98:99], v[221:222], v[98:99]
	v_mul_f64 v[221:222], v[130:131], s[42:43]
	buffer_store_dword v118, off, s[60:63], 0 offset:444 ; 4-byte Folded Spill
	s_nop 0
	buffer_store_dword v119, off, s[60:63], 0 offset:448 ; 4-byte Folded Spill
	v_fma_f64 v[96:97], v[144:145], s[40:41], -v[96:97]
	buffer_store_dword v116, off, s[60:63], 0 offset:436 ; 4-byte Folded Spill
	s_nop 0
	buffer_store_dword v117, off, s[60:63], 0 offset:440 ; 4-byte Folded Spill
	v_add_f64 v[56:57], v[28:29], v[56:57]
	v_add_f64 v[58:59], v[30:31], v[58:59]
	v_fma_f64 v[223:224], v[114:115], s[40:41], -v[221:222]
	v_add_f64 v[96:97], v[30:31], v[96:97]
	v_add_f64 v[68:69], v[56:57], v[68:69]
	;; [unrolled: 1-line block ×7, first 2 shown]
	v_mul_f64 v[232:233], v[152:153], s[34:35]
	v_add_f64 v[84:85], v[68:69], v[84:85]
	v_add_f64 v[86:87], v[70:71], v[86:87]
	v_fma_f64 v[234:235], v[178:179], s[30:31], v[232:233]
	v_add_f64 v[82:83], v[86:87], v[82:83]
	v_add_f64 v[86:87], v[84:85], v[80:81]
	v_mul_f64 v[84:85], v[128:129], s[24:25]
	v_mul_f64 v[80:81], v[152:153], s[52:53]
	v_add_f64 v[98:99], v[234:235], v[98:99]
	v_mul_f64 v[234:235], v[174:175], s[34:35]
	v_add_f64 v[66:67], v[82:83], v[66:67]
	v_add_f64 v[64:65], v[86:87], v[64:65]
	v_add_f64 v[84:85], v[92:93], -v[84:85]
	v_mul_f64 v[92:93], v[138:139], s[38:39]
	v_add_f64 v[80:81], v[200:201], -v[80:81]
	v_fma_f64 v[238:239], v[136:137], s[30:31], -v[234:235]
	v_add_f64 v[50:51], v[66:67], v[50:51]
	v_add_f64 v[48:49], v[64:65], v[48:49]
	;; [unrolled: 1-line block ×3, first 2 shown]
	v_add_f64 v[92:93], v[94:95], -v[92:93]
	v_mul_f64 v[94:95], v[126:127], s[30:31]
	v_add_f64 v[223:224], v[238:239], v[223:224]
	v_mul_f64 v[238:239], v[156:157], s[52:53]
	v_add_f64 v[50:51], v[50:51], v[78:79]
	v_add_f64 v[48:49], v[48:49], v[76:77]
	;; [unrolled: 1-line block ×3, first 2 shown]
	v_mul_f64 v[92:93], v[156:157], s[14:15]
	v_add_f64 v[94:95], v[94:95], v[170:171]
	v_fma_f64 v[240:241], v[194:195], s[10:11], v[238:239]
	v_mul_f64 v[170:171], v[188:189], s[18:19]
	v_add_f64 v[50:51], v[50:51], v[74:75]
	v_add_f64 v[48:49], v[48:49], v[72:73]
	v_add_f64 v[80:81], v[80:81], v[84:85]
	v_add_f64 v[92:93], v[196:197], -v[92:93]
	v_mul_f64 v[84:85], v[172:173], s[42:43]
	v_add_f64 v[98:99], v[240:241], v[98:99]
	v_mul_f64 v[240:241], v[198:199], s[52:53]
	v_add_f64 v[50:51], v[50:51], v[54:55]
	v_add_f64 v[48:49], v[48:49], v[52:53]
	;; [unrolled: 1-line block ×3, first 2 shown]
	v_add_f64 v[84:85], v[202:203], -v[84:85]
	v_mul_f64 v[92:93], v[184:185], s[56:57]
	v_fma_f64 v[244:245], v[148:149], s[10:11], -v[240:241]
	v_add_f64 v[46:47], v[50:51], v[46:47]
	v_add_f64 v[44:45], v[48:49], v[44:45]
	;; [unrolled: 1-line block ×3, first 2 shown]
	v_add_f64 v[92:93], v[204:205], -v[92:93]
	v_add_f64 v[223:224], v[244:245], v[223:224]
	v_mul_f64 v[244:245], v[172:173], s[26:27]
	v_mul_f64 v[84:85], v[190:191], s[4:5]
	v_add_f64 v[42:43], v[46:47], v[42:43]
	v_add_f64 v[40:41], v[44:45], v[40:41]
	;; [unrolled: 1-line block ×3, first 2 shown]
	v_mul_f64 v[92:93], v[212:213], s[26:27]
	v_fma_f64 v[246:247], v[206:207], s[28:29], v[244:245]
	v_add_f64 v[84:85], v[208:209], -v[84:85]
	v_add_f64 v[38:39], v[42:43], v[38:39]
	v_add_f64 v[36:37], v[40:41], v[36:37]
	v_add_f64 v[92:93], v[216:217], -v[92:93]
	v_add_f64 v[98:99], v[246:247], v[98:99]
	v_mul_f64 v[246:247], v[214:215], s[26:27]
	v_add_f64 v[80:81], v[84:85], v[80:81]
	v_mul_f64 v[84:85], v[136:137], s[10:11]
	v_add_f64 v[34:35], v[38:39], v[34:35]
	v_add_f64 v[32:33], v[36:37], v[32:33]
	v_fma_f64 v[248:249], v[168:169], s[28:29], -v[246:247]
	v_add_f64 v[80:81], v[92:93], v[80:81]
	v_add_f64 v[84:85], v[84:85], v[88:89]
	v_mul_f64 v[88:89], v[114:115], s[22:23]
	v_add_f64 v[26:27], v[34:35], v[26:27]
	v_add_f64 v[34:35], v[32:33], v[24:25]
	;; [unrolled: 1-line block ×3, first 2 shown]
	v_mul_f64 v[248:249], v[184:185], s[46:47]
	v_add_f64 v[88:89], v[88:89], v[166:167]
	v_add_f64 v[34:35], v[34:35], v[20:21]
	v_mul_u32_u24_e32 v20, 0x110, v100
	v_add3_u32 v20, 0, v20, v227
	v_fma_f64 v[250:251], v[228:229], s[16:17], v[248:249]
	v_add_f64 v[88:89], v[28:29], v[88:89]
	v_add_f64 v[98:99], v[250:251], v[98:99]
	v_mul_f64 v[250:251], v[230:231], s[46:47]
	v_add_f64 v[88:89], v[94:95], v[88:89]
	v_mul_f64 v[94:95], v[148:149], s[16:17]
	v_fma_f64 v[252:253], v[182:183], s[16:17], -v[250:251]
	v_add_f64 v[84:85], v[84:85], v[88:89]
	v_add_f64 v[94:95], v[94:95], v[176:177]
	v_mul_f64 v[88:89], v[168:169], s[40:41]
	v_mul_f64 v[176:177], v[212:213], s[34:35]
	v_add_f64 v[223:224], v[252:253], v[223:224]
	v_mul_f64 v[252:253], v[190:191], s[24:25]
	v_add_f64 v[84:85], v[94:95], v[84:85]
	v_add_f64 v[88:89], v[88:89], v[90:91]
	v_mul_f64 v[90:91], v[182:183], s[18:19]
	v_mul_f64 v[94:95], v[128:129], s[20:21]
	v_fma_f64 v[254:255], v[236:237], s[22:23], v[252:253]
	v_add_f64 v[84:85], v[88:89], v[84:85]
	v_add_f64 v[90:91], v[90:91], v[180:181]
	v_mul_f64 v[88:89], v[188:189], s[6:7]
	v_add_f64 v[94:95], v[132:133], -v[94:95]
	v_mul_f64 v[132:133], v[138:139], s[20:21]
	v_add_f64 v[98:99], v[254:255], v[98:99]
	v_mul_f64 v[254:255], v[242:243], s[24:25]
	v_add_f64 v[84:85], v[90:91], v[84:85]
	v_add_f64 v[88:89], v[88:89], v[186:187]
	;; [unrolled: 1-line block ×3, first 2 shown]
	v_mul_f64 v[90:91], v[210:211], s[28:29]
	v_fma_f64 v[101:102], v[188:189], s[22:23], -v[254:255]
	v_add_f64 v[88:89], v[88:89], v[84:85]
	v_mul_f64 v[84:85], v[152:153], s[44:45]
	v_add_f64 v[90:91], v[90:91], v[192:193]
	v_add_f64 v[101:102], v[101:102], v[223:224]
	v_mul_f64 v[223:224], v[212:213], s[56:57]
	v_add_f64 v[84:85], v[142:143], -v[84:85]
	v_fma_f64 v[105:106], v[103:104], s[18:19], v[223:224]
	v_add_f64 v[118:119], v[105:106], v[98:99]
	v_mul_f64 v[98:99], v[107:108], s[56:57]
	v_fma_f64 v[105:106], v[210:211], s[18:19], -v[98:99]
	v_fma_f64 v[98:99], v[210:211], s[18:19], v[98:99]
	v_add_f64 v[116:117], v[105:106], v[101:102]
	v_fma_f64 v[101:102], v[146:147], s[6:7], -v[219:220]
	v_fma_f64 v[105:106], v[126:127], s[6:7], v[225:226]
	buffer_store_dword v116, off, s[60:63], 0 offset:276 ; 4-byte Folded Spill
	s_nop 0
	buffer_store_dword v117, off, s[60:63], 0 offset:280 ; 4-byte Folded Spill
	buffer_store_dword v118, off, s[60:63], 0 offset:284 ; 4-byte Folded Spill
	buffer_store_dword v119, off, s[60:63], 0 offset:288 ; 4-byte Folded Spill
	v_add_f64 v[96:97], v[101:102], v[96:97]
	v_fma_f64 v[101:102], v[114:115], s[40:41], v[221:222]
	v_mul_f64 v[219:220], v[152:153], s[20:21]
	v_mul_f64 v[221:222], v[156:157], s[54:55]
	;; [unrolled: 1-line block ×3, first 2 shown]
	v_add_f64 v[101:102], v[28:29], v[101:102]
	v_add_f64 v[101:102], v[105:106], v[101:102]
	v_fma_f64 v[105:106], v[178:179], s[30:31], -v[232:233]
	v_mul_f64 v[232:233], v[190:191], s[52:53]
	v_add_f64 v[96:97], v[105:106], v[96:97]
	v_fma_f64 v[105:106], v[136:137], s[30:31], v[234:235]
	v_mul_f64 v[234:235], v[130:131], s[34:35]
	v_mul_f64 v[130:131], v[130:131], s[26:27]
	v_add_f64 v[101:102], v[105:106], v[101:102]
	v_fma_f64 v[105:106], v[194:195], s[10:11], -v[238:239]
	v_mul_f64 v[238:239], v[158:159], s[46:47]
	v_mul_f64 v[158:159], v[158:159], s[44:45]
	v_add_f64 v[96:97], v[105:106], v[96:97]
	v_fma_f64 v[105:106], v[148:149], s[10:11], v[240:241]
	v_fma_f64 v[240:241], v[126:127], s[16:17], -v[238:239]
	v_add_f64 v[101:102], v[105:106], v[101:102]
	v_fma_f64 v[105:106], v[206:207], s[28:29], -v[244:245]
	v_add_f64 v[96:97], v[105:106], v[96:97]
	v_fma_f64 v[105:106], v[168:169], s[28:29], v[246:247]
	v_add_f64 v[101:102], v[105:106], v[101:102]
	v_fma_f64 v[105:106], v[228:229], s[16:17], -v[248:249]
	v_add_f64 v[96:97], v[105:106], v[96:97]
	v_fma_f64 v[105:106], v[236:237], s[22:23], -v[252:253]
	v_add_f64 v[96:97], v[105:106], v[96:97]
	v_fma_f64 v[105:106], v[182:183], s[16:17], v[250:251]
	v_add_f64 v[101:102], v[105:106], v[101:102]
	v_fma_f64 v[105:106], v[188:189], s[22:23], v[254:255]
	v_mul_f64 v[254:255], v[212:213], s[24:25]
	v_add_f64 v[101:102], v[105:106], v[101:102]
	v_fma_f64 v[105:106], v[103:104], s[18:19], -v[223:224]
	v_mul_f64 v[223:224], v[172:173], s[4:5]
	v_add_f64 v[116:117], v[98:99], v[101:102]
	v_mul_f64 v[101:102], v[128:129], s[34:35]
	v_add_f64 v[118:119], v[105:106], v[96:97]
	v_mul_f64 v[105:106], v[138:139], s[46:47]
	buffer_store_dword v116, off, s[60:63], 0 offset:340 ; 4-byte Folded Spill
	s_nop 0
	buffer_store_dword v117, off, s[60:63], 0 offset:344 ; 4-byte Folded Spill
	buffer_store_dword v118, off, s[60:63], 0 offset:348 ; 4-byte Folded Spill
	;; [unrolled: 1-line block ×3, first 2 shown]
	v_fma_f64 v[96:97], v[144:145], s[30:31], v[101:102]
	v_fma_f64 v[98:99], v[146:147], s[16:17], v[105:106]
	v_fma_f64 v[56:57], v[144:145], s[30:31], -v[101:102]
	v_fma_f64 v[58:59], v[146:147], s[16:17], -v[105:106]
	v_fma_f64 v[101:102], v[126:127], s[16:17], v[238:239]
	buffer_store_dword v109, off, s[60:63], 0 offset:428 ; 4-byte Folded Spill
	s_nop 0
	buffer_store_dword v110, off, s[60:63], 0 offset:432 ; 4-byte Folded Spill
	v_mul_f64 v[109:110], v[107:108], s[24:25]
	v_mul_f64 v[238:239], v[212:213], s[46:47]
	v_add_f64 v[96:97], v[30:31], v[96:97]
	v_mul_f64 v[107:108], v[107:108], s[46:47]
	v_add_f64 v[56:57], v[30:31], v[56:57]
	v_fma_f64 v[105:106], v[210:211], s[22:23], v[109:110]
	v_add_f64 v[96:97], v[98:99], v[96:97]
	v_fma_f64 v[98:99], v[178:179], s[18:19], v[219:220]
	v_add_f64 v[56:57], v[58:59], v[56:57]
	v_fma_f64 v[58:59], v[178:179], s[18:19], -v[219:220]
	v_mul_f64 v[219:220], v[156:157], s[34:35]
	v_add_f64 v[96:97], v[98:99], v[96:97]
	v_fma_f64 v[98:99], v[194:195], s[28:29], v[221:222]
	v_add_f64 v[56:57], v[58:59], v[56:57]
	v_fma_f64 v[58:59], v[194:195], s[28:29], -v[221:222]
	v_mul_f64 v[221:222], v[172:173], s[56:57]
	;; [unrolled: 5-line block ×4, first 2 shown]
	v_add_f64 v[96:97], v[98:99], v[96:97]
	v_fma_f64 v[98:99], v[236:237], s[10:11], v[232:233]
	v_add_f64 v[56:57], v[58:59], v[56:57]
	v_fma_f64 v[58:59], v[236:237], s[10:11], -v[232:233]
	v_fma_f64 v[232:233], v[126:127], s[22:23], -v[158:159]
	v_add_f64 v[96:97], v[98:99], v[96:97]
	v_fma_f64 v[98:99], v[114:115], s[30:31], -v[234:235]
	v_add_f64 v[56:57], v[58:59], v[56:57]
	v_fma_f64 v[58:59], v[114:115], s[30:31], v[234:235]
	v_add_f64 v[98:99], v[28:29], v[98:99]
	v_add_f64 v[58:59], v[28:29], v[58:59]
	;; [unrolled: 1-line block ×3, first 2 shown]
	v_mul_f64 v[240:241], v[174:175], s[20:21]
	v_add_f64 v[58:59], v[101:102], v[58:59]
	v_mul_f64 v[174:175], v[174:175], s[4:5]
	v_fma_f64 v[244:245], v[136:137], s[18:19], -v[240:241]
	v_fma_f64 v[101:102], v[136:137], s[18:19], v[240:241]
	v_add_f64 v[98:99], v[244:245], v[98:99]
	v_mul_f64 v[244:245], v[198:199], s[54:55]
	v_add_f64 v[58:59], v[101:102], v[58:59]
	v_mul_f64 v[198:199], v[198:199], s[34:35]
	v_fma_f64 v[246:247], v[148:149], s[28:29], -v[244:245]
	v_fma_f64 v[101:102], v[148:149], s[28:29], v[244:245]
	v_add_f64 v[98:99], v[246:247], v[98:99]
	;; [unrolled: 6-line block ×4, first 2 shown]
	v_mul_f64 v[250:251], v[242:243], s[52:53]
	v_add_f64 v[58:59], v[101:102], v[58:59]
	v_fma_f64 v[101:102], v[188:189], s[10:11], v[250:251]
	v_fma_f64 v[252:253], v[188:189], s[10:11], -v[250:251]
	v_add_f64 v[101:102], v[101:102], v[58:59]
	v_fma_f64 v[58:59], v[103:104], s[22:23], -v[254:255]
	v_add_f64 v[252:253], v[252:253], v[98:99]
	v_fma_f64 v[98:99], v[103:104], s[22:23], v[254:255]
	v_add_f64 v[58:59], v[58:59], v[56:57]
	v_add_f64 v[56:57], v[105:106], v[101:102]
	v_mul_f64 v[101:102], v[128:129], s[26:27]
	v_mul_f64 v[105:106], v[138:139], s[44:45]
	v_add_f64 v[98:99], v[98:99], v[96:97]
	v_fma_f64 v[96:97], v[210:211], s[22:23], -v[109:110]
	v_mul_f64 v[109:110], v[152:153], s[4:5]
	v_fma_f64 v[60:61], v[144:145], s[28:29], v[101:102]
	v_fma_f64 v[62:63], v[146:147], s[22:23], v[105:106]
	v_fma_f64 v[68:69], v[144:145], s[28:29], -v[101:102]
	v_fma_f64 v[101:102], v[146:147], s[22:23], -v[105:106]
	v_fma_f64 v[70:71], v[178:179], s[6:7], -v[109:110]
	v_fma_f64 v[105:106], v[210:211], s[16:17], v[107:108]
	v_mul_f64 v[146:147], v[148:149], s[40:41]
	v_add_f64 v[96:97], v[96:97], v[252:253]
	v_add_f64 v[60:61], v[30:31], v[60:61]
	;; [unrolled: 1-line block ×4, first 2 shown]
	v_fma_f64 v[62:63], v[178:179], s[6:7], v[109:110]
	v_add_f64 v[68:69], v[101:102], v[68:69]
	v_fma_f64 v[101:102], v[194:195], s[30:31], -v[219:220]
	v_mul_f64 v[178:179], v[210:211], s[30:31]
	v_add_f64 v[60:61], v[62:63], v[60:61]
	v_fma_f64 v[62:63], v[194:195], s[30:31], v[219:220]
	buffer_load_dword v219, off, s[60:63], 0 offset:264 ; 4-byte Folded Reload
	buffer_load_dword v220, off, s[60:63], 0 offset:268 ; 4-byte Folded Reload
	v_add_f64 v[68:69], v[70:71], v[68:69]
	v_fma_f64 v[70:71], v[206:207], s[18:19], -v[221:222]
	v_add_f64 v[60:61], v[62:63], v[60:61]
	v_fma_f64 v[62:63], v[206:207], s[18:19], v[221:222]
	buffer_load_dword v221, off, s[60:63], 0 offset:272 ; 4-byte Folded Reload
	buffer_load_dword v109, off, s[60:63], 0 offset:240 ; 4-byte Folded Reload
	;; [unrolled: 1-line block ×3, first 2 shown]
	v_add_f64 v[68:69], v[101:102], v[68:69]
	v_fma_f64 v[101:102], v[228:229], s[10:11], -v[223:224]
	v_add_u32_e32 v222, 0, v227
	v_add_f64 v[60:61], v[62:63], v[60:61]
	v_fma_f64 v[62:63], v[228:229], s[10:11], v[223:224]
	v_add_f64 v[68:69], v[70:71], v[68:69]
	v_fma_f64 v[70:71], v[236:237], s[40:41], -v[225:226]
	v_add_f64 v[60:61], v[62:63], v[60:61]
	v_fma_f64 v[62:63], v[236:237], s[40:41], v[225:226]
	v_add_f64 v[68:69], v[101:102], v[68:69]
	v_fma_f64 v[101:102], v[103:104], s[16:17], -v[238:239]
	v_add_f64 v[60:61], v[62:63], v[60:61]
	v_fma_f64 v[62:63], v[114:115], s[28:29], -v[130:131]
	v_add_f64 v[68:69], v[70:71], v[68:69]
	v_fma_f64 v[70:71], v[114:115], s[28:29], v[130:131]
	v_add_f64 v[62:63], v[28:29], v[62:63]
	v_add_f64 v[70:71], v[28:29], v[70:71]
	;; [unrolled: 1-line block ×3, first 2 shown]
	v_fma_f64 v[232:233], v[136:137], s[6:7], -v[174:175]
	v_add_f64 v[62:63], v[232:233], v[62:63]
	v_fma_f64 v[232:233], v[148:149], s[30:31], -v[198:199]
	v_add_f64 v[62:63], v[232:233], v[62:63]
	v_fma_f64 v[232:233], v[168:169], s[18:19], -v[214:215]
	v_add_f64 v[62:63], v[232:233], v[62:63]
	v_fma_f64 v[232:233], v[182:183], s[10:11], -v[230:231]
	v_add_f64 v[62:63], v[232:233], v[62:63]
	v_mul_f64 v[232:233], v[242:243], s[42:43]
	v_fma_f64 v[234:235], v[188:189], s[40:41], -v[232:233]
	v_add_f64 v[234:235], v[234:235], v[62:63]
	v_fma_f64 v[62:63], v[103:104], s[16:17], v[238:239]
	v_fma_f64 v[103:104], v[126:127], s[22:23], v[158:159]
	v_mul_f64 v[158:159], v[168:169], s[10:11]
	v_add_f64 v[62:63], v[62:63], v[60:61]
	v_fma_f64 v[60:61], v[210:211], s[16:17], -v[107:108]
	v_mul_f64 v[107:108], v[114:115], s[18:19]
	v_add_f64 v[70:71], v[103:104], v[70:71]
	v_fma_f64 v[103:104], v[136:137], s[6:7], v[174:175]
	v_add_f64 v[60:61], v[60:61], v[234:235]
	s_waitcnt vmcnt(0)
	v_add_f64 v[107:108], v[107:108], v[109:110]
	v_mul_f64 v[109:110], v[126:127], s[40:41]
	v_add_f64 v[70:71], v[103:104], v[70:71]
	v_fma_f64 v[103:104], v[148:149], s[30:31], v[198:199]
	v_add_f64 v[107:108], v[28:29], v[107:108]
	v_add_f64 v[109:110], v[109:110], v[111:112]
	buffer_load_dword v111, off, s[60:63], 0 offset:200 ; 4-byte Folded Reload
	buffer_load_dword v112, off, s[60:63], 0 offset:204 ; 4-byte Folded Reload
	buffer_load_dword v116, off, s[60:63], 0 offset:444 ; 4-byte Folded Reload
	buffer_load_dword v117, off, s[60:63], 0 offset:448 ; 4-byte Folded Reload
	v_add_f64 v[70:71], v[103:104], v[70:71]
	v_fma_f64 v[103:104], v[168:169], s[18:19], v[214:215]
	v_add_f64 v[107:108], v[109:110], v[107:108]
	v_mul_f64 v[109:110], v[148:149], s[6:7]
	v_add_f64 v[70:71], v[103:104], v[70:71]
	v_fma_f64 v[103:104], v[182:183], s[10:11], v[230:231]
	v_add_f64 v[109:110], v[109:110], v[120:121]
	v_mul_f64 v[120:121], v[138:139], s[26:27]
	v_add_f64 v[70:71], v[103:104], v[70:71]
	v_fma_f64 v[103:104], v[188:189], s[40:41], v[232:233]
	v_add_f64 v[103:104], v[103:104], v[70:71]
	v_add_f64 v[70:71], v[101:102], v[68:69]
	v_mul_f64 v[101:102], v[138:139], s[42:43]
	v_add_f64 v[68:69], v[105:106], v[103:104]
	v_mul_f64 v[105:106], v[136:137], s[22:23]
	v_add_f64 v[101:102], v[134:135], -v[101:102]
	v_mul_f64 v[103:104], v[168:169], s[16:17]
	v_add_f64 v[105:106], v[105:106], v[122:123]
	v_mul_f64 v[122:123], v[172:173], s[52:53]
	v_add_f64 v[94:95], v[101:102], v[94:95]
	;; [unrolled: 2-line block ×5, first 2 shown]
	v_add_f64 v[101:102], v[140:141], -v[101:102]
	v_mul_f64 v[94:95], v[172:173], s[14:15]
	v_mul_f64 v[140:141], v[152:153], s[26:27]
	v_add_f64 v[105:106], v[109:110], v[105:106]
	v_mul_f64 v[109:110], v[182:183], s[30:31]
	v_add_f64 v[84:85], v[101:102], v[84:85]
	v_add_f64 v[94:95], v[154:155], -v[94:95]
	v_mul_f64 v[101:102], v[184:185], s[34:35]
	v_add_f64 v[103:104], v[103:104], v[105:106]
	v_mul_f64 v[105:106], v[210:211], s[10:11]
	v_add_f64 v[84:85], v[94:95], v[84:85]
	v_add_f64 v[101:102], v[160:161], -v[101:102]
	v_mul_f64 v[94:95], v[190:191], s[54:55]
	s_waitcnt vmcnt(2)
	v_add_f64 v[107:108], v[111:112], -v[107:108]
	v_mul_f64 v[111:112], v[128:129], s[14:15]
	v_add_f64 v[84:85], v[101:102], v[84:85]
	v_add_f64 v[94:95], v[162:163], -v[94:95]
	v_mul_f64 v[101:102], v[212:213], s[52:53]
	v_mul_f64 v[162:163], v[184:185], s[44:45]
	s_waitcnt vmcnt(0)
	v_add_f64 v[111:112], v[116:117], -v[111:112]
	buffer_load_dword v116, off, s[60:63], 0 offset:192 ; 4-byte Folded Reload
	buffer_load_dword v117, off, s[60:63], 0 offset:196 ; 4-byte Folded Reload
	v_add_f64 v[84:85], v[94:95], v[84:85]
	v_mul_f64 v[94:95], v[188:189], s[28:29]
	v_add_f64 v[101:102], v[164:165], -v[101:102]
	v_mul_f64 v[164:165], v[182:183], s[6:7]
	v_add_f64 v[111:112], v[30:31], v[111:112]
	v_add_f64 v[94:95], v[94:95], v[150:151]
	;; [unrolled: 1-line block ×3, first 2 shown]
	s_waitcnt vmcnt(0)
	v_add_f64 v[120:121], v[116:117], -v[120:121]
	buffer_load_dword v116, off, s[60:63], 0 offset:208 ; 4-byte Folded Reload
	buffer_load_dword v117, off, s[60:63], 0 offset:212 ; 4-byte Folded Reload
	v_add_f64 v[111:112], v[120:121], v[111:112]
	v_mul_f64 v[120:121], v[156:157], s[44:45]
	v_add_f64 v[107:108], v[107:108], v[111:112]
	v_mul_f64 v[111:112], v[114:115], s[6:7]
	s_waitcnt vmcnt(0)
	v_add_f64 v[120:121], v[116:117], -v[120:121]
	buffer_load_dword v116, off, s[60:63], 0 offset:248 ; 4-byte Folded Reload
	buffer_load_dword v117, off, s[60:63], 0 offset:252 ; 4-byte Folded Reload
	;; [unrolled: 1-line block ×4, first 2 shown]
	v_add_f64 v[107:108], v[120:121], v[107:108]
	v_mul_f64 v[120:121], v[114:115], s[10:11]
	v_mul_f64 v[114:115], v[114:115], s[16:17]
	s_waitcnt vmcnt(2)
	v_add_f64 v[109:110], v[109:110], v[116:117]
	s_waitcnt vmcnt(0)
	v_add_f64 v[122:123], v[118:119], -v[122:123]
	buffer_load_dword v118, off, s[60:63], 0 offset:256 ; 4-byte Folded Reload
	buffer_load_dword v119, off, s[60:63], 0 offset:260 ; 4-byte Folded Reload
	;; [unrolled: 1-line block ×6, first 2 shown]
	v_mul_f64 v[116:117], v[128:129], s[4:5]
	v_mul_f64 v[128:129], v[128:129], s[12:13]
	v_add_f64 v[103:104], v[109:110], v[103:104]
	v_add_f64 v[107:108], v[122:123], v[107:108]
	v_mul_f64 v[122:123], v[148:149], s[22:23]
	v_mul_f64 v[109:110], v[126:127], s[10:11]
	v_add_f64 v[94:95], v[94:95], v[103:104]
	v_mul_f64 v[103:104], v[126:127], s[18:19]
	v_mul_f64 v[126:127], v[126:127], s[28:29]
	s_waitcnt vmcnt(4)
	v_add_f64 v[105:106], v[105:106], v[118:119]
	s_waitcnt vmcnt(2)
	v_add_f64 v[124:125], v[130:131], -v[124:125]
	v_mul_f64 v[130:131], v[138:139], s[12:13]
	buffer_load_dword v138, off, s[60:63], 0 offset:436 ; 4-byte Folded Reload
	buffer_load_dword v139, off, s[60:63], 0 offset:440 ; 4-byte Folded Reload
	;; [unrolled: 1-line block ×8, first 2 shown]
	v_mul_f64 v[118:119], v[190:191], s[20:21]
	v_add_f64 v[107:108], v[124:125], v[107:108]
	v_mul_f64 v[124:125], v[152:153], s[14:15]
	buffer_load_dword v152, off, s[60:63], 0 offset:176 ; 4-byte Folded Reload
	buffer_load_dword v153, off, s[60:63], 0 offset:180 ; 4-byte Folded Reload
	;; [unrolled: 1-line block ×8, first 2 shown]
	s_waitcnt vmcnt(16)
	v_add_f64 v[118:119], v[134:135], -v[118:119]
	v_mul_f64 v[134:135], v[136:137], s[16:17]
	v_add_f64 v[107:108], v[118:119], v[107:108]
	s_waitcnt vmcnt(14)
	v_add_f64 v[122:123], v[122:123], v[138:139]
	v_mul_f64 v[138:139], v[136:137], s[28:29]
	v_mul_f64 v[136:137], v[136:137], s[40:41]
	s_waitcnt vmcnt(12)
	v_add_f64 v[114:115], v[114:115], v[142:143]
	v_mul_f64 v[142:143], v[148:149], s[18:19]
	s_waitcnt vmcnt(10)
	v_add_f64 v[128:129], v[144:145], -v[128:129]
	v_mul_f64 v[144:145], v[156:157], s[20:21]
	v_mul_f64 v[148:149], v[156:157], s[42:43]
	;; [unrolled: 1-line block ×3, first 2 shown]
	s_waitcnt vmcnt(8)
	v_add_f64 v[126:127], v[126:127], v[150:151]
	s_waitcnt vmcnt(6)
	v_add_f64 v[136:137], v[136:137], v[152:153]
	v_mul_f64 v[152:153], v[172:173], s[24:25]
	buffer_load_dword v172, off, s[60:63], 0 offset:184 ; 4-byte Folded Reload
	buffer_load_dword v173, off, s[60:63], 0 offset:188 ; 4-byte Folded Reload
	;; [unrolled: 1-line block ×10, first 2 shown]
	v_add_f64 v[114:115], v[28:29], v[114:115]
	s_waitcnt vmcnt(14)
	v_add_f64 v[132:133], v[154:155], -v[132:133]
	v_add_f64 v[128:129], v[30:31], v[128:129]
	s_waitcnt vmcnt(12)
	v_add_f64 v[140:141], v[160:161], -v[140:141]
	s_waitcnt vmcnt(10)
	v_add_f64 v[148:149], v[166:167], -v[148:149]
	buffer_load_dword v118, off, s[60:63], 0 offset:64 ; 4-byte Folded Reload
	buffer_load_dword v119, off, s[60:63], 0 offset:68 ; 4-byte Folded Reload
	;; [unrolled: 1-line block ×6, first 2 shown]
	v_add_f64 v[114:115], v[126:127], v[114:115]
	v_mul_f64 v[150:151], v[168:169], s[22:23]
	v_add_f64 v[128:129], v[132:133], v[128:129]
	v_mul_f64 v[160:161], v[184:185], s[26:27]
	v_mul_f64 v[126:127], v[182:183], s[28:29]
	;; [unrolled: 1-line block ×5, first 2 shown]
	v_add_f64 v[114:115], v[136:137], v[114:115]
	v_mul_f64 v[136:137], v[188:189], s[30:31]
	v_add_f64 v[128:129], v[140:141], v[128:129]
	v_mul_f64 v[140:141], v[188:189], s[16:17]
	v_mul_f64 v[168:169], v[190:191], s[46:47]
	v_add_f64 v[114:115], v[122:123], v[114:115]
	v_mul_f64 v[122:123], v[212:213], s[48:49]
	v_add_f64 v[128:129], v[148:149], v[128:129]
	v_mul_f64 v[148:149], v[210:211], s[6:7]
	s_waitcnt vmcnt(14)
	v_add_f64 v[158:159], v[158:159], v[172:173]
	s_waitcnt vmcnt(12)
	v_add_f64 v[156:157], v[174:175], -v[156:157]
	s_waitcnt vmcnt(10)
	v_add_f64 v[92:93], v[92:93], -v[162:163]
	v_mul_f64 v[172:173], v[210:211], s[40:41]
	s_waitcnt vmcnt(6)
	v_add_f64 v[86:87], v[164:165], v[86:87]
	v_mul_f64 v[174:175], v[212:213], s[42:43]
	v_add_f64 v[82:83], v[82:83], -v[176:177]
	v_add_f64 v[114:115], v[158:159], v[114:115]
	v_add_f64 v[101:102], v[156:157], v[128:129]
	s_waitcnt vmcnt(4)
	v_add_f64 v[118:119], v[118:119], -v[168:169]
	s_waitcnt vmcnt(2)
	v_add_f64 v[64:65], v[178:179], v[64:65]
	s_waitcnt vmcnt(0)
	v_add_f64 v[66:67], v[170:171], v[66:67]
	v_add_f64 v[24:25], v[82:83], v[107:108]
	;; [unrolled: 1-line block ×5, first 2 shown]
	buffer_load_dword v101, off, s[60:63], 0 offset:72 ; 4-byte Folded Reload
	buffer_load_dword v102, off, s[60:63], 0 offset:76 ; 4-byte Folded Reload
	;; [unrolled: 1-line block ×6, first 2 shown]
	buffer_load_dword v78, off, s[60:63], 0 ; 4-byte Folded Reload
	buffer_load_dword v79, off, s[60:63], 0 offset:4 ; 4-byte Folded Reload
	v_add_f64 v[92:93], v[118:119], v[92:93]
	s_waitcnt vmcnt(6)
	v_add_f64 v[101:102], v[101:102], -v[122:123]
	s_waitcnt vmcnt(4)
	v_add_f64 v[114:115], v[114:115], -v[116:117]
	s_waitcnt vmcnt(2)
	v_add_f64 v[76:77], v[111:112], v[76:77]
	buffer_load_dword v111, off, s[60:63], 0 offset:8 ; 4-byte Folded Reload
	buffer_load_dword v112, off, s[60:63], 0 offset:12 ; 4-byte Folded Reload
	s_waitcnt vmcnt(2)
	v_add_f64 v[78:79], v[120:121], v[78:79]
	v_add_f64 v[30:31], v[30:31], v[114:115]
	;; [unrolled: 1-line block ×4, first 2 shown]
	s_waitcnt vmcnt(0)
	v_add_f64 v[103:104], v[103:104], v[111:112]
	buffer_load_dword v111, off, s[60:63], 0 offset:404 ; 4-byte Folded Reload
	buffer_load_dword v112, off, s[60:63], 0 offset:408 ; 4-byte Folded Reload
	;; [unrolled: 1-line block ×12, first 2 shown]
	v_add_f64 v[28:29], v[103:104], v[28:29]
	s_waitcnt vmcnt(10)
	v_add_f64 v[111:112], v[111:112], -v[130:131]
	s_waitcnt vmcnt(8)
	v_add_f64 v[109:110], v[109:110], v[114:115]
	s_waitcnt vmcnt(6)
	v_add_f64 v[74:75], v[138:139], v[74:75]
	s_waitcnt vmcnt(4)
	v_add_f64 v[76:77], v[76:77], -v[124:125]
	s_waitcnt vmcnt(2)
	v_add_f64 v[78:79], v[134:135], v[78:79]
	s_waitcnt vmcnt(0)
	v_add_f64 v[54:55], v[146:147], v[54:55]
	v_add_f64 v[30:31], v[111:112], v[30:31]
	;; [unrolled: 1-line block ×3, first 2 shown]
	buffer_load_dword v72, off, s[60:63], 0 offset:388 ; 4-byte Folded Reload
	buffer_load_dword v73, off, s[60:63], 0 offset:392 ; 4-byte Folded Reload
	v_add_f64 v[28:29], v[74:75], v[28:29]
	v_add_f64 v[30:31], v[76:77], v[30:31]
	buffer_load_dword v76, off, s[60:63], 0 offset:356 ; 4-byte Folded Reload
	buffer_load_dword v77, off, s[60:63], 0 offset:360 ; 4-byte Folded Reload
	v_add_f64 v[48:49], v[78:79], v[52:53]
	buffer_load_dword v50, off, s[60:63], 0 offset:32 ; 4-byte Folded Reload
	buffer_load_dword v51, off, s[60:63], 0 offset:36 ; 4-byte Folded Reload
	;; [unrolled: 1-line block ×4, first 2 shown]
	v_add_f64 v[28:29], v[54:55], v[28:29]
	v_add_f64 v[78:79], v[90:91], v[88:89]
	s_waitcnt vmcnt(6)
	v_add_f64 v[72:73], v[72:73], -v[144:145]
	s_waitcnt vmcnt(4)
	v_add_f64 v[76:77], v[142:143], v[76:77]
	v_add_f64 v[30:31], v[72:73], v[30:31]
	buffer_load_dword v72, off, s[60:63], 0 offset:332 ; 4-byte Folded Reload
	buffer_load_dword v73, off, s[60:63], 0 offset:336 ; 4-byte Folded Reload
	s_waitcnt vmcnt(2)
	v_add_f64 v[52:53], v[52:53], -v[152:153]
	buffer_load_dword v46, off, s[60:63], 0 offset:40 ; 4-byte Folded Reload
	buffer_load_dword v47, off, s[60:63], 0 offset:44 ; 4-byte Folded Reload
	v_add_f64 v[50:51], v[154:155], v[50:51]
	v_add_f64 v[44:45], v[76:77], v[48:49]
	buffer_load_dword v48, off, s[60:63], 0 offset:372 ; 4-byte Folded Reload
	buffer_load_dword v49, off, s[60:63], 0 offset:376 ; 4-byte Folded Reload
	v_add_f64 v[30:31], v[52:53], v[30:31]
	buffer_load_dword v52, off, s[60:63], 0 offset:316 ; 4-byte Folded Reload
	buffer_load_dword v53, off, s[60:63], 0 offset:320 ; 4-byte Folded Reload
	;; [unrolled: 1-line block ×4, first 2 shown]
	v_add_f64 v[28:29], v[50:51], v[28:29]
	s_waitcnt vmcnt(8)
	v_add_f64 v[72:73], v[150:151], v[72:73]
	s_waitcnt vmcnt(6)
	;; [unrolled: 2-line block ×3, first 2 shown]
	v_add_f64 v[48:49], v[48:49], -v[160:161]
	v_add_f64 v[40:41], v[72:73], v[44:45]
	buffer_load_dword v44, off, s[60:63], 0 offset:364 ; 4-byte Folded Reload
	buffer_load_dword v45, off, s[60:63], 0 offset:368 ; 4-byte Folded Reload
	s_waitcnt vmcnt(4)
	v_add_f64 v[52:53], v[126:127], v[52:53]
	s_waitcnt vmcnt(2)
	v_add_f64 v[42:43], v[140:141], v[42:43]
	v_add_f64 v[28:29], v[46:47], v[28:29]
	;; [unrolled: 1-line block ×3, first 2 shown]
	buffer_load_dword v48, off, s[60:63], 0 offset:308 ; 4-byte Folded Reload
	buffer_load_dword v49, off, s[60:63], 0 offset:312 ; 4-byte Folded Reload
	;; [unrolled: 1-line block ×4, first 2 shown]
	v_add_f64 v[36:37], v[52:53], v[40:41]
	buffer_load_dword v40, off, s[60:63], 0 offset:324 ; 4-byte Folded Reload
	buffer_load_dword v41, off, s[60:63], 0 offset:328 ; 4-byte Folded Reload
	v_add_f64 v[42:43], v[42:43], v[28:29]
	v_add_f64 v[28:29], v[101:102], v[92:93]
	s_waitcnt vmcnt(6)
	v_add_f64 v[44:45], v[44:45], -v[166:167]
	s_waitcnt vmcnt(4)
	v_add_f64 v[48:49], v[136:137], v[48:49]
	v_add_f64 v[30:31], v[44:45], v[30:31]
	buffer_load_dword v44, off, s[60:63], 0 offset:300 ; 4-byte Folded Reload
	buffer_load_dword v45, off, s[60:63], 0 offset:304 ; 4-byte Folded Reload
	s_waitcnt vmcnt(2)
	v_add_f64 v[40:41], v[40:41], -v[174:175]
	v_add_f64 v[38:39], v[148:149], v[38:39]
	v_add_f64 v[46:47], v[48:49], v[36:37]
	;; [unrolled: 1-line block ×7, first 2 shown]
	s_waitcnt vmcnt(0)
	v_add_f64 v[44:45], v[172:173], v[44:45]
	v_add_f64 v[30:31], v[44:45], v[46:47]
	ds_write_b128 v20, v[34:37]
	ds_write_b128 v20, v[30:33] offset:16
	ds_write_b128 v20, v[26:29] offset:32
	;; [unrolled: 1-line block ×7, first 2 shown]
	buffer_load_dword v21, off, s[60:63], 0 offset:340 ; 4-byte Folded Reload
	buffer_load_dword v22, off, s[60:63], 0 offset:344 ; 4-byte Folded Reload
	;; [unrolled: 1-line block ×4, first 2 shown]
	s_waitcnt vmcnt(0)
	ds_write_b128 v20, v[21:24] offset:128
	buffer_load_dword v21, off, s[60:63], 0 offset:276 ; 4-byte Folded Reload
	buffer_load_dword v22, off, s[60:63], 0 offset:280 ; 4-byte Folded Reload
	buffer_load_dword v23, off, s[60:63], 0 offset:284 ; 4-byte Folded Reload
	buffer_load_dword v24, off, s[60:63], 0 offset:288 ; 4-byte Folded Reload
	s_waitcnt vmcnt(0)
	ds_write_b128 v20, v[21:24] offset:144
	ds_write_b128 v20, v[96:99] offset:160
	ds_write_b128 v20, v[60:63] offset:176
	ds_write_b128 v20, v[12:15] offset:192
	ds_write_b128 v20, v[16:19] offset:208
	ds_write_b128 v20, v[8:11] offset:224
	ds_write_b128 v20, v[4:7] offset:240
	ds_write_b128 v20, v[0:3] offset:256
.LBB0_13:
	s_or_b64 exec, exec, s[36:37]
	s_waitcnt lgkmcnt(0)
	s_barrier
	ds_read_b128 v[28:31], v113
	ds_read_b128 v[24:27], v218 offset:1632
	ds_read_b128 v[52:55], v218 offset:3536
	;; [unrolled: 1-line block ×11, first 2 shown]
	v_cmp_gt_u32_e32 vcc, 17, v100
                                        ; implicit-def: $vgpr22_vgpr23
	s_and_saveexec_b64 s[4:5], vcc
	s_cbranch_execz .LBB0_15
; %bb.14:
	ds_read_b128 v[12:15], v218 offset:3264
	ds_read_b128 v[16:19], v218 offset:6800
	;; [unrolled: 1-line block ×6, first 2 shown]
.LBB0_15:
	s_or_b64 exec, exec, s[4:5]
	s_movk_i32 s4, 0xf1
	v_mul_lo_u16_sdwa v72, v100, s4 dst_sel:DWORD dst_unused:UNUSED_PAD src0_sel:BYTE_0 src1_sel:DWORD
	v_lshrrev_b16_e32 v134, 12, v72
	v_add_u16_e32 v90, 0x66, v100
	v_mul_lo_u16_e32 v72, 17, v134
	v_mul_lo_u16_sdwa v91, v90, s4 dst_sel:DWORD dst_unused:UNUSED_PAD src0_sel:BYTE_0 src1_sel:DWORD
	v_sub_u16_e32 v135, v100, v72
	v_mov_b32_e32 v88, 5
	v_lshrrev_b16_e32 v136, 12, v91
	v_mul_u32_u24_sdwa v72, v135, v88 dst_sel:DWORD dst_unused:UNUSED_PAD src0_sel:BYTE_0 src1_sel:DWORD
	v_mul_lo_u16_e32 v91, 17, v136
	v_lshlrev_b32_e32 v89, 4, v72
	v_sub_u16_e32 v137, v90, v91
	global_load_dwordx4 v[72:75], v89, s[8:9] offset:16
	global_load_dwordx4 v[76:79], v89, s[8:9]
	global_load_dwordx4 v[80:83], v89, s[8:9] offset:48
	global_load_dwordx4 v[84:87], v89, s[8:9] offset:32
	v_mul_u32_u24_sdwa v92, v137, v88 dst_sel:DWORD dst_unused:UNUSED_PAD src0_sel:BYTE_0 src1_sel:DWORD
	global_load_dwordx4 v[88:91], v89, s[8:9] offset:64
	v_lshlrev_b32_e32 v114, 4, v92
	global_load_dwordx4 v[92:95], v114, s[8:9]
	global_load_dwordx4 v[96:99], v114, s[8:9] offset:16
	global_load_dwordx4 v[101:104], v114, s[8:9] offset:32
	;; [unrolled: 1-line block ×4, first 2 shown]
	s_mov_b32 s4, 0xe8584caa
	s_mov_b32 s5, 0xbfebb67a
	;; [unrolled: 1-line block ×4, first 2 shown]
	s_movk_i32 s10, 0x660
	s_waitcnt vmcnt(0) lgkmcnt(0)
	s_barrier
	v_mul_f64 v[116:117], v[58:59], v[74:75]
	v_mul_f64 v[114:115], v[54:55], v[78:79]
	;; [unrolled: 1-line block ×20, first 2 shown]
	v_fma_f64 v[54:55], v[54:55], v[76:77], -v[78:79]
	v_fma_f64 v[60:61], v[60:61], v[84:85], v[118:119]
	v_fma_f64 v[62:63], v[62:63], v[84:85], -v[86:87]
	v_fma_f64 v[68:69], v[68:69], v[88:89], v[122:123]
	;; [unrolled: 2-line block ×3, first 2 shown]
	v_fma_f64 v[56:57], v[56:57], v[72:73], v[116:117]
	v_fma_f64 v[58:59], v[58:59], v[72:73], -v[74:75]
	v_fma_f64 v[64:65], v[64:65], v[80:81], v[120:121]
	v_fma_f64 v[66:67], v[66:67], v[80:81], -v[82:83]
	v_fma_f64 v[34:35], v[34:35], v[92:93], -v[94:95]
	v_fma_f64 v[36:37], v[36:37], v[96:97], v[126:127]
	v_fma_f64 v[38:39], v[38:39], v[96:97], -v[98:99]
	v_fma_f64 v[40:41], v[40:41], v[101:102], v[128:129]
	;; [unrolled: 2-line block ×4, first 2 shown]
	v_fma_f64 v[50:51], v[50:51], v[109:110], -v[111:112]
	v_add_f64 v[82:83], v[60:61], v[68:69]
	v_add_f64 v[84:85], v[62:63], -v[70:71]
	v_add_f64 v[86:87], v[54:55], v[62:63]
	v_add_f64 v[62:63], v[62:63], v[70:71]
	v_fma_f64 v[32:33], v[32:33], v[92:93], v[124:125]
	v_add_f64 v[72:73], v[28:29], v[56:57]
	v_add_f64 v[74:75], v[56:57], v[64:65]
	v_add_f64 v[76:77], v[58:59], -v[66:67]
	v_add_f64 v[78:79], v[30:31], v[58:59]
	v_add_f64 v[58:59], v[58:59], v[66:67]
	;; [unrolled: 1-line block ×3, first 2 shown]
	v_add_f64 v[60:61], v[60:61], -v[68:69]
	v_add_f64 v[88:89], v[24:25], v[36:37]
	v_add_f64 v[90:91], v[36:37], v[44:45]
	v_add_f64 v[92:93], v[38:39], -v[46:47]
	v_add_f64 v[94:95], v[26:27], v[38:39]
	v_add_f64 v[38:39], v[38:39], v[46:47]
	v_add_f64 v[96:97], v[36:37], -v[44:45]
	v_add_f64 v[36:37], v[40:41], v[48:49]
	v_add_f64 v[101:102], v[42:43], -v[50:51]
	v_add_f64 v[103:104], v[34:35], v[42:43]
	v_add_f64 v[42:43], v[42:43], v[50:51]
	v_fma_f64 v[52:53], v[82:83], -0.5, v[52:53]
	v_fma_f64 v[54:55], v[62:63], -0.5, v[54:55]
	v_add_f64 v[56:57], v[56:57], -v[64:65]
	v_add_f64 v[98:99], v[32:33], v[40:41]
	v_add_f64 v[40:41], v[40:41], -v[48:49]
	v_add_f64 v[64:65], v[72:73], v[64:65]
	v_fma_f64 v[28:29], v[74:75], -0.5, v[28:29]
	v_add_f64 v[66:67], v[78:79], v[66:67]
	v_fma_f64 v[30:31], v[58:59], -0.5, v[30:31]
	v_add_f64 v[58:59], v[80:81], v[68:69]
	v_add_f64 v[68:69], v[86:87], v[70:71]
	;; [unrolled: 1-line block ×3, first 2 shown]
	v_fma_f64 v[44:45], v[90:91], -0.5, v[24:25]
	v_add_f64 v[70:71], v[94:95], v[46:47]
	v_fma_f64 v[46:47], v[38:39], -0.5, v[26:27]
	v_fma_f64 v[32:33], v[36:37], -0.5, v[32:33]
	;; [unrolled: 1-line block ×3, first 2 shown]
	v_fma_f64 v[36:37], v[84:85], s[4:5], v[52:53]
	v_fma_f64 v[38:39], v[84:85], s[6:7], v[52:53]
	;; [unrolled: 1-line block ×8, first 2 shown]
	v_add_f64 v[24:25], v[64:65], v[58:59]
	v_add_f64 v[26:27], v[66:67], v[68:69]
	v_add_f64 v[28:29], v[64:65], -v[58:59]
	v_add_f64 v[30:31], v[66:67], -v[68:69]
	v_fma_f64 v[64:65], v[92:93], s[4:5], v[44:45]
	v_fma_f64 v[66:67], v[92:93], s[6:7], v[44:45]
	v_mul_f64 v[44:45], v[52:53], s[4:5]
	v_mul_f64 v[58:59], v[54:55], s[4:5]
	v_fma_f64 v[60:61], v[40:41], s[6:7], v[34:35]
	v_fma_f64 v[34:35], v[40:41], s[4:5], v[34:35]
	v_mul_f64 v[52:53], v[52:53], 0.5
	v_mul_f64 v[54:55], v[54:55], -0.5
	v_fma_f64 v[68:69], v[101:102], s[4:5], v[32:33]
	v_fma_f64 v[78:79], v[101:102], s[6:7], v[32:33]
	v_fma_f64 v[40:41], v[36:37], 0.5, v[44:45]
	v_fma_f64 v[44:45], v[38:39], -0.5, v[58:59]
	v_mul_f64 v[58:59], v[60:61], s[4:5]
	v_mul_f64 v[60:61], v[60:61], 0.5
	v_mul_f64 v[80:81], v[34:35], s[4:5]
	v_mul_f64 v[82:83], v[34:35], -0.5
	v_fma_f64 v[52:53], v[36:37], s[6:7], v[52:53]
	v_fma_f64 v[54:55], v[38:39], s[6:7], v[54:55]
	v_add_f64 v[84:85], v[98:99], v[48:49]
	v_add_f64 v[88:89], v[103:104], v[50:51]
	v_fma_f64 v[76:77], v[96:97], s[6:7], v[46:47]
	v_fma_f64 v[86:87], v[68:69], 0.5, v[58:59]
	v_fma_f64 v[90:91], v[68:69], s[6:7], v[60:61]
	v_add_f64 v[36:37], v[72:73], v[44:45]
	v_add_f64 v[44:45], v[72:73], -v[44:45]
	v_fma_f64 v[72:73], v[96:97], s[4:5], v[46:47]
	v_fma_f64 v[80:81], v[78:79], -0.5, v[80:81]
	v_fma_f64 v[78:79], v[78:79], s[6:7], v[82:83]
	v_add_f64 v[32:33], v[42:43], v[40:41]
	v_add_f64 v[34:35], v[74:75], v[52:53]
	;; [unrolled: 1-line block ×5, first 2 shown]
	v_add_f64 v[40:41], v[42:43], -v[40:41]
	v_add_f64 v[42:43], v[74:75], -v[52:53]
	;; [unrolled: 1-line block ×3, first 2 shown]
	v_add_f64 v[52:53], v[64:65], v[86:87]
	v_add_f64 v[54:55], v[76:77], v[90:91]
	;; [unrolled: 1-line block ×4, first 2 shown]
	v_add_f64 v[60:61], v[62:63], -v[84:85]
	v_add_f64 v[62:63], v[70:71], -v[88:89]
	;; [unrolled: 1-line block ×3, first 2 shown]
	v_mov_b32_e32 v73, 4
	v_add_f64 v[64:65], v[64:65], -v[86:87]
	v_add_f64 v[68:69], v[66:67], -v[80:81]
	;; [unrolled: 1-line block ×3, first 2 shown]
	v_mad_u32_u24 v72, v134, s10, 0
	v_lshlrev_b32_sdwa v74, v73, v135 dst_sel:DWORD dst_unused:UNUSED_PAD src0_sel:DWORD src1_sel:BYTE_0
	v_add3_u32 v72, v72, v74, v227
	ds_write_b128 v72, v[24:27]
	ds_write_b128 v72, v[32:35] offset:272
	ds_write_b128 v72, v[36:39] offset:544
	;; [unrolled: 1-line block ×5, first 2 shown]
	v_mad_u32_u24 v24, v136, s10, 0
	v_lshlrev_b32_sdwa v25, v73, v137 dst_sel:DWORD dst_unused:UNUSED_PAD src0_sel:DWORD src1_sel:BYTE_0
	v_add3_u32 v24, v24, v25, v227
	ds_write_b128 v24, v[48:51]
	ds_write_b128 v24, v[52:55] offset:272
	ds_write_b128 v24, v[56:59] offset:544
	ds_write_b128 v24, v[60:63] offset:816
	ds_write_b128 v24, v[64:67] offset:1088
	ds_write_b128 v24, v[68:71] offset:1360
	s_and_saveexec_b64 s[10:11], vcc
	s_cbranch_execz .LBB0_17
; %bb.16:
	v_add_u32_e32 v24, 0xcc, v100
	s_mov_b32 s12, 0xf0f1
	v_mul_u32_u24_sdwa v25, v24, s12 dst_sel:DWORD dst_unused:UNUSED_PAD src0_sel:WORD_0 src1_sel:DWORD
	v_lshrrev_b32_e32 v25, 20, v25
	v_mul_lo_u16_e32 v25, 17, v25
	v_sub_u16_e32 v54, v24, v25
	v_mul_u32_u24_e32 v24, 5, v54
	v_lshlrev_b32_e32 v44, 4, v24
	global_load_dwordx4 v[24:27], v44, s[8:9] offset:16
	global_load_dwordx4 v[28:31], v44, s[8:9] offset:48
	;; [unrolled: 1-line block ×4, first 2 shown]
	global_load_dwordx4 v[40:43], v44, s[8:9]
	s_waitcnt vmcnt(4)
	v_mul_f64 v[44:45], v[8:9], v[26:27]
	s_waitcnt vmcnt(3)
	v_mul_f64 v[46:47], v[0:1], v[30:31]
	;; [unrolled: 2-line block ×4, first 2 shown]
	v_mul_f64 v[26:27], v[10:11], v[26:27]
	s_waitcnt vmcnt(0)
	v_mul_f64 v[52:53], v[18:19], v[42:43]
	v_mul_f64 v[34:35], v[6:7], v[34:35]
	;; [unrolled: 1-line block ×5, first 2 shown]
	v_fma_f64 v[6:7], v[6:7], v[32:33], -v[48:49]
	v_fma_f64 v[22:23], v[22:23], v[36:37], -v[50:51]
	;; [unrolled: 1-line block ×4, first 2 shown]
	v_fma_f64 v[8:9], v[8:9], v[24:25], v[26:27]
	v_fma_f64 v[4:5], v[4:5], v[32:33], v[34:35]
	;; [unrolled: 1-line block ×3, first 2 shown]
	v_fma_f64 v[18:19], v[18:19], v[40:41], -v[42:43]
	v_fma_f64 v[0:1], v[0:1], v[28:29], v[30:31]
	v_add_f64 v[24:25], v[6:7], v[22:23]
	v_fma_f64 v[16:17], v[16:17], v[40:41], v[52:53]
	v_add_f64 v[26:27], v[10:11], v[2:3]
	v_add_f64 v[30:31], v[6:7], -v[22:23]
	v_add_f64 v[36:37], v[14:15], v[10:11]
	v_add_f64 v[32:33], v[4:5], v[20:21]
	v_add_f64 v[34:35], v[4:5], -v[20:21]
	v_add_f64 v[6:7], v[18:19], v[6:7]
	v_fma_f64 v[18:19], v[24:25], -0.5, v[18:19]
	v_add_f64 v[28:29], v[8:9], -v[0:1]
	v_add_f64 v[10:11], v[10:11], -v[2:3]
	v_add_f64 v[24:25], v[8:9], v[0:1]
	v_add_f64 v[4:5], v[16:17], v[4:5]
	v_fma_f64 v[14:15], v[26:27], -0.5, v[14:15]
	v_fma_f64 v[16:17], v[32:33], -0.5, v[16:17]
	v_add_f64 v[26:27], v[36:37], v[2:3]
	v_fma_f64 v[2:3], v[34:35], s[4:5], v[18:19]
	v_fma_f64 v[18:19], v[34:35], s[6:7], v[18:19]
	v_add_f64 v[8:9], v[12:13], v[8:9]
	v_add_f64 v[6:7], v[6:7], v[22:23]
	v_fma_f64 v[12:13], v[24:25], -0.5, v[12:13]
	v_add_f64 v[4:5], v[4:5], v[20:21]
	v_fma_f64 v[20:21], v[30:31], s[6:7], v[16:17]
	v_fma_f64 v[16:17], v[30:31], s[4:5], v[16:17]
	;; [unrolled: 1-line block ×3, first 2 shown]
	v_mul_f64 v[22:23], v[18:19], 0.5
	v_fma_f64 v[28:29], v[28:29], s[6:7], v[14:15]
	v_mul_f64 v[14:15], v[18:19], s[4:5]
	v_add_f64 v[8:9], v[8:9], v[0:1]
	v_mul_f64 v[0:1], v[2:3], -0.5
	v_mul_f64 v[18:19], v[2:3], s[4:5]
	v_fma_f64 v[30:31], v[10:11], s[6:7], v[12:13]
	v_fma_f64 v[12:13], v[10:11], s[4:5], v[12:13]
	;; [unrolled: 1-line block ×3, first 2 shown]
	v_add_f64 v[2:3], v[26:27], -v[6:7]
	v_fma_f64 v[34:35], v[16:17], 0.5, v[14:15]
	v_add_f64 v[6:7], v[26:27], v[6:7]
	v_fma_f64 v[32:33], v[20:21], s[6:7], v[0:1]
	v_fma_f64 v[36:37], v[20:21], -0.5, v[18:19]
	v_add_f64 v[0:1], v[8:9], -v[4:5]
	v_add_f64 v[4:5], v[8:9], v[4:5]
	v_add_f64 v[14:15], v[28:29], -v[22:23]
	v_add_f64 v[22:23], v[28:29], v[22:23]
	v_add_f64 v[20:21], v[12:13], v[34:35]
	v_add_f64 v[12:13], v[12:13], -v[34:35]
	v_add_f64 v[18:19], v[24:25], v[32:33]
	v_add_f64 v[16:17], v[30:31], v[36:37]
	v_add_f64 v[10:11], v[24:25], -v[32:33]
	v_add_f64 v[8:9], v[30:31], -v[36:37]
	v_lshlrev_b32_e32 v24, 4, v54
	v_add3_u32 v24, 0, v24, v227
	ds_write_b128 v24, v[4:7] offset:19584
	ds_write_b128 v24, v[0:3] offset:20400
	;; [unrolled: 1-line block ×6, first 2 shown]
.LBB0_17:
	s_or_b64 exec, exec, s[10:11]
	v_mul_u32_u24_e32 v0, 12, v100
	v_lshlrev_b32_e32 v48, 4, v0
	s_waitcnt lgkmcnt(0)
	s_barrier
	global_load_dwordx4 v[0:3], v48, s[8:9] offset:1360
	global_load_dwordx4 v[4:7], v48, s[8:9] offset:1376
	;; [unrolled: 1-line block ×12, first 2 shown]
	ds_read_b128 v[48:51], v113
	ds_read_b128 v[52:55], v218 offset:1632
	ds_read_b128 v[56:59], v218 offset:3264
	;; [unrolled: 1-line block ×12, first 2 shown]
	s_mov_b32 s28, 0x4267c47c
	s_mov_b32 s29, 0xbfddbe06
	;; [unrolled: 1-line block ×36, first 2 shown]
	s_waitcnt vmcnt(0) lgkmcnt(0)
	s_barrier
	v_cmp_ne_u32_e32 vcc, 0, v100
	v_mul_f64 v[101:102], v[54:55], v[2:3]
	v_mul_f64 v[2:3], v[52:53], v[2:3]
	;; [unrolled: 1-line block ×10, first 2 shown]
	v_fma_f64 v[52:53], v[52:53], v[0:1], v[101:102]
	v_fma_f64 v[0:1], v[54:55], v[0:1], -v[2:3]
	v_fma_f64 v[54:55], v[56:57], v[4:5], v[103:104]
	v_fma_f64 v[56:57], v[58:59], v[4:5], -v[6:7]
	;; [unrolled: 2-line block ×5, first 2 shown]
	v_add_f64 v[2:3], v[48:49], v[52:53]
	v_add_f64 v[18:19], v[50:51], v[0:1]
	v_mul_f64 v[111:112], v[74:75], v[22:23]
	v_mul_f64 v[22:23], v[72:73], v[22:23]
	;; [unrolled: 1-line block ×6, first 2 shown]
	v_add_f64 v[2:3], v[2:3], v[54:55]
	v_add_f64 v[18:19], v[18:19], v[56:57]
	v_fma_f64 v[4:5], v[72:73], v[20:21], v[111:112]
	v_fma_f64 v[8:9], v[74:75], v[20:21], -v[22:23]
	v_mul_f64 v[116:117], v[82:83], v[30:31]
	v_mul_f64 v[30:31], v[80:81], v[30:31]
	;; [unrolled: 1-line block ×4, first 2 shown]
	v_add_f64 v[2:3], v[2:3], v[58:59]
	v_add_f64 v[18:19], v[18:19], v[60:61]
	v_mul_f64 v[120:121], v[90:91], v[38:39]
	v_mul_f64 v[38:39], v[88:89], v[38:39]
	v_fma_f64 v[6:7], v[76:77], v[24:25], v[114:115]
	v_fma_f64 v[10:11], v[78:79], v[24:25], -v[26:27]
	v_fma_f64 v[24:25], v[98:99], v[44:45], -v[46:47]
	v_mul_f64 v[122:123], v[94:95], v[42:43]
	v_add_f64 v[2:3], v[2:3], v[62:63]
	v_add_f64 v[18:19], v[18:19], v[12:13]
	v_mul_f64 v[42:43], v[92:93], v[42:43]
	v_fma_f64 v[20:21], v[80:81], v[28:29], v[116:117]
	v_fma_f64 v[22:23], v[82:83], v[28:29], -v[30:31]
	v_fma_f64 v[26:27], v[84:85], v[32:33], v[118:119]
	v_fma_f64 v[28:29], v[86:87], v[32:33], -v[34:35]
	v_fma_f64 v[30:31], v[88:89], v[36:37], v[120:121]
	v_add_f64 v[2:3], v[2:3], v[14:15]
	v_add_f64 v[18:19], v[18:19], v[16:17]
	v_fma_f64 v[32:33], v[96:97], v[44:45], v[124:125]
	v_fma_f64 v[34:35], v[90:91], v[36:37], -v[38:39]
	v_add_f64 v[36:37], v[0:1], -v[24:25]
	v_add_f64 v[38:39], v[0:1], v[24:25]
	v_fma_f64 v[44:45], v[92:93], v[40:41], v[122:123]
	v_fma_f64 v[40:41], v[94:95], v[40:41], -v[42:43]
	v_add_f64 v[2:3], v[2:3], v[4:5]
	v_add_f64 v[18:19], v[18:19], v[8:9]
	;; [unrolled: 1-line block ×3, first 2 shown]
	v_add_f64 v[46:47], v[52:53], -v[32:33]
	v_mul_f64 v[0:1], v[36:37], s[28:29]
	v_mul_f64 v[64:65], v[36:37], s[12:13]
	;; [unrolled: 1-line block ×4, first 2 shown]
	v_add_f64 v[2:3], v[2:3], v[6:7]
	v_add_f64 v[18:19], v[18:19], v[10:11]
	v_mul_f64 v[70:71], v[38:39], s[6:7]
	v_mul_f64 v[72:73], v[36:37], s[16:17]
	v_fma_f64 v[80:81], v[42:43], s[22:23], v[0:1]
	v_fma_f64 v[0:1], v[42:43], s[22:23], -v[0:1]
	v_mul_f64 v[74:75], v[38:39], s[20:21]
	v_mul_f64 v[76:77], v[36:37], s[30:31]
	v_add_f64 v[2:3], v[2:3], v[20:21]
	v_add_f64 v[18:19], v[18:19], v[22:23]
	v_mul_f64 v[78:79], v[38:39], s[34:35]
	v_mul_f64 v[52:53], v[38:39], s[22:23]
	;; [unrolled: 1-line block ×3, first 2 shown]
	v_add_f64 v[101:102], v[48:49], v[0:1]
	v_fma_f64 v[84:85], v[42:43], s[14:15], v[64:65]
	v_fma_f64 v[86:87], v[46:47], s[18:19], v[66:67]
	v_add_f64 v[2:3], v[2:3], v[26:27]
	v_add_f64 v[18:19], v[18:19], v[28:29]
	v_fma_f64 v[64:65], v[42:43], s[14:15], -v[64:65]
	v_fma_f64 v[66:67], v[46:47], s[12:13], v[66:67]
	v_fma_f64 v[88:89], v[42:43], s[6:7], v[68:69]
	;; [unrolled: 1-line block ×5, first 2 shown]
	v_add_f64 v[0:1], v[2:3], v[30:31]
	v_add_f64 v[2:3], v[18:19], v[34:35]
	v_fma_f64 v[96:97], v[42:43], s[34:35], v[76:77]
	v_fma_f64 v[98:99], v[46:47], s[36:37], v[78:79]
	v_mul_f64 v[38:39], v[38:39], s[40:41]
	v_fma_f64 v[82:83], v[46:47], s[26:27], v[52:53]
	v_fma_f64 v[52:53], v[46:47], s[28:29], v[52:53]
	v_fma_f64 v[68:69], v[42:43], s[6:7], -v[68:69]
	v_add_f64 v[0:1], v[0:1], v[44:45]
	v_add_f64 v[2:3], v[2:3], v[40:41]
	v_fma_f64 v[70:71], v[46:47], s[4:5], v[70:71]
	v_fma_f64 v[72:73], v[42:43], s[20:21], -v[72:73]
	v_fma_f64 v[74:75], v[46:47], s[16:17], v[74:75]
	v_fma_f64 v[76:77], v[42:43], s[34:35], -v[76:77]
	v_fma_f64 v[78:79], v[46:47], s[30:31], v[78:79]
	v_add_f64 v[18:19], v[48:49], v[64:65]
	v_add_f64 v[0:1], v[0:1], v[32:33]
	v_add_f64 v[2:3], v[2:3], v[24:25]
	v_add_f64 v[24:25], v[56:57], v[40:41]
	v_add_f64 v[32:33], v[56:57], -v[40:41]
	v_add_f64 v[64:65], v[50:51], v[66:67]
	v_add_f64 v[66:67], v[48:49], v[88:89]
	;; [unrolled: 1-line block ×7, first 2 shown]
	v_fma_f64 v[40:41], v[42:43], s[40:41], v[36:37]
	v_add_f64 v[56:57], v[54:55], v[44:45]
	v_add_f64 v[44:45], v[54:55], -v[44:45]
	v_mul_f64 v[54:55], v[32:33], s[12:13]
	v_mul_f64 v[98:99], v[24:25], s[14:15]
	v_fma_f64 v[103:104], v[46:47], s[42:43], v[38:39]
	v_fma_f64 v[36:37], v[42:43], s[40:41], -v[36:37]
	v_fma_f64 v[38:39], v[46:47], s[38:39], v[38:39]
	v_add_f64 v[80:81], v[48:49], v[80:81]
	v_add_f64 v[82:83], v[50:51], v[82:83]
	;; [unrolled: 1-line block ×11, first 2 shown]
	v_fma_f64 v[76:77], v[56:57], s[14:15], v[54:55]
	v_fma_f64 v[78:79], v[44:45], s[18:19], v[98:99]
	v_add_f64 v[40:41], v[48:49], v[40:41]
	v_add_f64 v[103:104], v[50:51], v[103:104]
	;; [unrolled: 1-line block ×4, first 2 shown]
	v_mul_f64 v[48:49], v[32:33], s[16:17]
	v_mul_f64 v[50:51], v[24:25], s[20:21]
	v_add_f64 v[76:77], v[76:77], v[80:81]
	v_add_f64 v[78:79], v[78:79], v[82:83]
	v_fma_f64 v[54:55], v[56:57], s[14:15], -v[54:55]
	v_fma_f64 v[80:81], v[44:45], s[12:13], v[98:99]
	v_mul_f64 v[82:83], v[32:33], s[38:39]
	v_mul_f64 v[98:99], v[24:25], s[40:41]
	v_fma_f64 v[105:106], v[56:57], s[20:21], v[48:49]
	v_fma_f64 v[107:108], v[44:45], s[24:25], v[50:51]
	v_fma_f64 v[48:49], v[56:57], s[20:21], -v[48:49]
	v_fma_f64 v[50:51], v[44:45], s[16:17], v[50:51]
	v_add_f64 v[54:55], v[54:55], v[101:102]
	v_add_f64 v[52:53], v[80:81], v[52:53]
	v_fma_f64 v[80:81], v[56:57], s[40:41], v[82:83]
	v_fma_f64 v[101:102], v[44:45], s[42:43], v[98:99]
	v_add_f64 v[84:85], v[105:106], v[84:85]
	v_add_f64 v[86:87], v[107:108], v[86:87]
	;; [unrolled: 1-line block ×4, first 2 shown]
	v_mul_f64 v[50:51], v[32:33], s[36:37]
	v_mul_f64 v[64:65], v[24:25], s[34:35]
	v_add_f64 v[66:67], v[80:81], v[66:67]
	v_add_f64 v[80:81], v[101:102], v[88:89]
	v_mul_f64 v[88:89], v[32:33], s[10:11]
	v_mul_f64 v[101:102], v[24:25], s[6:7]
	v_fma_f64 v[82:83], v[56:57], s[40:41], -v[82:83]
	v_fma_f64 v[98:99], v[44:45], s[38:39], v[98:99]
	v_fma_f64 v[105:106], v[56:57], s[34:35], v[50:51]
	;; [unrolled: 1-line block ×3, first 2 shown]
	v_fma_f64 v[50:51], v[56:57], s[34:35], -v[50:51]
	v_fma_f64 v[64:65], v[44:45], s[36:37], v[64:65]
	v_fma_f64 v[109:110], v[56:57], s[6:7], v[88:89]
	;; [unrolled: 1-line block ×3, first 2 shown]
	v_add_f64 v[68:69], v[82:83], v[68:69]
	v_mul_f64 v[32:33], v[32:33], s[26:27]
	v_add_f64 v[82:83], v[105:106], v[90:91]
	v_add_f64 v[90:91], v[107:108], v[92:93]
	v_add_f64 v[92:93], v[60:61], -v[34:35]
	v_add_f64 v[34:35], v[60:61], v[34:35]
	v_add_f64 v[50:51], v[50:51], v[72:73]
	;; [unrolled: 1-line block ×5, first 2 shown]
	v_mul_f64 v[24:25], v[24:25], s[22:23]
	v_fma_f64 v[60:61], v[56:57], s[6:7], -v[88:89]
	v_fma_f64 v[88:89], v[44:45], s[10:11], v[101:102]
	v_add_f64 v[94:95], v[58:59], v[30:31]
	v_add_f64 v[30:31], v[58:59], -v[30:31]
	v_mul_f64 v[58:59], v[92:93], s[4:5]
	v_mul_f64 v[96:97], v[34:35], s[6:7]
	v_add_f64 v[70:71], v[98:99], v[70:71]
	v_fma_f64 v[98:99], v[56:57], s[22:23], v[32:33]
	v_fma_f64 v[101:102], v[44:45], s[28:29], v[24:25]
	v_fma_f64 v[32:33], v[56:57], s[22:23], -v[32:33]
	v_fma_f64 v[24:25], v[44:45], s[26:27], v[24:25]
	v_add_f64 v[44:45], v[88:89], v[46:47]
	v_fma_f64 v[46:47], v[94:95], s[6:7], v[58:59]
	v_fma_f64 v[56:57], v[30:31], s[10:11], v[96:97]
	v_fma_f64 v[58:59], v[94:95], s[6:7], -v[58:59]
	v_mul_f64 v[88:89], v[34:35], s[20:21]
	v_add_f64 v[40:41], v[98:99], v[40:41]
	v_add_f64 v[32:33], v[32:33], v[36:37]
	;; [unrolled: 1-line block ×3, first 2 shown]
	v_mul_f64 v[36:37], v[92:93], s[38:39]
	v_mul_f64 v[38:39], v[34:35], s[40:41]
	v_add_f64 v[46:47], v[46:47], v[76:77]
	v_add_f64 v[56:57], v[56:57], v[78:79]
	v_fma_f64 v[76:77], v[30:31], s[4:5], v[96:97]
	v_mul_f64 v[78:79], v[92:93], s[24:25]
	v_add_f64 v[54:55], v[58:59], v[54:55]
	v_add_f64 v[42:43], v[60:61], v[42:43]
	v_fma_f64 v[96:97], v[94:95], s[40:41], v[36:37]
	v_fma_f64 v[98:99], v[30:31], s[42:43], v[38:39]
	v_fma_f64 v[36:37], v[94:95], s[40:41], -v[36:37]
	v_fma_f64 v[38:39], v[30:31], s[38:39], v[38:39]
	v_add_f64 v[52:53], v[76:77], v[52:53]
	v_fma_f64 v[58:59], v[94:95], s[20:21], v[78:79]
	v_fma_f64 v[76:77], v[30:31], s[16:17], v[88:89]
	v_add_f64 v[60:61], v[101:102], v[103:104]
	v_add_f64 v[84:85], v[96:97], v[84:85]
	;; [unrolled: 1-line block ×5, first 2 shown]
	v_mul_f64 v[38:39], v[92:93], s[26:27]
	v_add_f64 v[58:59], v[58:59], v[66:67]
	v_add_f64 v[66:67], v[76:77], v[80:81]
	v_mul_f64 v[76:77], v[92:93], s[12:13]
	v_mul_f64 v[48:49], v[34:35], s[22:23]
	;; [unrolled: 1-line block ×3, first 2 shown]
	v_fma_f64 v[88:89], v[30:31], s[24:25], v[88:89]
	v_fma_f64 v[78:79], v[94:95], s[20:21], -v[78:79]
	v_fma_f64 v[96:97], v[94:95], s[22:23], v[38:39]
	v_fma_f64 v[38:39], v[94:95], s[22:23], -v[38:39]
	v_mul_f64 v[34:35], v[34:35], s[34:35]
	v_fma_f64 v[101:102], v[94:95], s[14:15], v[76:77]
	v_fma_f64 v[98:99], v[30:31], s[28:29], v[48:49]
	;; [unrolled: 1-line block ×4, first 2 shown]
	v_add_f64 v[70:71], v[88:89], v[70:71]
	v_add_f64 v[68:69], v[78:79], v[68:69]
	;; [unrolled: 1-line block ×5, first 2 shown]
	v_add_f64 v[72:73], v[12:13], -v[28:29]
	v_add_f64 v[12:13], v[12:13], v[28:29]
	v_add_f64 v[48:49], v[48:49], v[64:65]
	v_add_f64 v[64:65], v[103:104], v[74:75]
	v_mul_f64 v[28:29], v[92:93], s[30:31]
	v_fma_f64 v[74:75], v[94:95], s[14:15], -v[76:77]
	v_fma_f64 v[76:77], v[30:31], s[12:13], v[80:81]
	v_add_f64 v[80:81], v[62:63], v[26:27]
	v_add_f64 v[26:27], v[62:63], -v[26:27]
	v_mul_f64 v[62:63], v[72:73], s[16:17]
	v_mul_f64 v[88:89], v[12:13], s[20:21]
	v_add_f64 v[82:83], v[98:99], v[90:91]
	v_fma_f64 v[90:91], v[94:95], s[34:35], v[28:29]
	v_fma_f64 v[92:93], v[30:31], s[36:37], v[34:35]
	v_fma_f64 v[28:29], v[94:95], s[34:35], -v[28:29]
	v_fma_f64 v[30:31], v[30:31], s[30:31], v[34:35]
	v_add_f64 v[34:35], v[74:75], v[42:43]
	v_add_f64 v[42:43], v[76:77], v[44:45]
	v_fma_f64 v[44:45], v[80:81], s[20:21], v[62:63]
	v_fma_f64 v[74:75], v[26:27], s[24:25], v[88:89]
	v_mul_f64 v[76:77], v[12:13], s[22:23]
	v_add_f64 v[40:41], v[90:91], v[40:41]
	v_add_f64 v[28:29], v[28:29], v[32:33]
	;; [unrolled: 1-line block ×3, first 2 shown]
	v_mul_f64 v[30:31], v[72:73], s[36:37]
	v_mul_f64 v[32:33], v[12:13], s[34:35]
	v_add_f64 v[44:45], v[44:45], v[46:47]
	v_add_f64 v[46:47], v[74:75], v[56:57]
	v_fma_f64 v[56:57], v[80:81], s[20:21], -v[62:63]
	v_fma_f64 v[62:63], v[26:27], s[16:17], v[88:89]
	v_mul_f64 v[74:75], v[72:73], s[26:27]
	v_add_f64 v[60:61], v[92:93], v[60:61]
	v_fma_f64 v[88:89], v[80:81], s[34:35], v[30:31]
	v_fma_f64 v[90:91], v[26:27], s[30:31], v[32:33]
	v_fma_f64 v[30:31], v[80:81], s[34:35], -v[30:31]
	v_fma_f64 v[32:33], v[26:27], s[36:37], v[32:33]
	v_add_f64 v[54:55], v[56:57], v[54:55]
	v_add_f64 v[52:53], v[62:63], v[52:53]
	v_fma_f64 v[56:57], v[80:81], s[22:23], v[74:75]
	v_fma_f64 v[62:63], v[26:27], s[28:29], v[76:77]
	v_add_f64 v[84:85], v[88:89], v[84:85]
	v_add_f64 v[86:87], v[90:91], v[86:87]
	;; [unrolled: 1-line block ×4, first 2 shown]
	v_mul_f64 v[32:33], v[72:73], s[4:5]
	v_mul_f64 v[36:37], v[12:13], s[6:7]
	v_add_f64 v[56:57], v[56:57], v[58:59]
	v_add_f64 v[58:59], v[62:63], v[66:67]
	v_fma_f64 v[62:63], v[80:81], s[22:23], -v[74:75]
	v_fma_f64 v[66:67], v[26:27], s[26:27], v[76:77]
	v_mul_f64 v[74:75], v[72:73], s[42:43]
	v_mul_f64 v[76:77], v[12:13], s[40:41]
	v_fma_f64 v[88:89], v[80:81], s[6:7], v[32:33]
	v_fma_f64 v[90:91], v[26:27], s[10:11], v[36:37]
	v_fma_f64 v[32:33], v[80:81], s[6:7], -v[32:33]
	v_fma_f64 v[36:37], v[26:27], s[4:5], v[36:37]
	v_add_f64 v[62:63], v[62:63], v[68:69]
	v_add_f64 v[66:67], v[66:67], v[70:71]
	v_fma_f64 v[68:69], v[80:81], s[40:41], v[74:75]
	v_fma_f64 v[70:71], v[26:27], s[38:39], v[76:77]
	v_mul_f64 v[12:13], v[12:13], s[14:15]
	v_add_f64 v[78:79], v[88:89], v[78:79]
	v_add_f64 v[32:33], v[32:33], v[38:39]
	;; [unrolled: 1-line block ×3, first 2 shown]
	v_mul_f64 v[38:39], v[72:73], s[18:19]
	v_add_f64 v[82:83], v[90:91], v[82:83]
	v_add_f64 v[48:49], v[68:69], v[50:51]
	;; [unrolled: 1-line block ×3, first 2 shown]
	v_add_f64 v[64:65], v[16:17], -v[22:23]
	v_add_f64 v[16:17], v[16:17], v[22:23]
	v_fma_f64 v[22:23], v[80:81], s[40:41], -v[74:75]
	v_fma_f64 v[68:69], v[26:27], s[42:43], v[76:77]
	v_fma_f64 v[70:71], v[80:81], s[14:15], v[38:39]
	;; [unrolled: 1-line block ×3, first 2 shown]
	v_add_f64 v[74:75], v[14:15], v[20:21]
	v_add_f64 v[14:15], v[14:15], -v[20:21]
	v_mul_f64 v[20:21], v[64:65], s[30:31]
	v_mul_f64 v[76:77], v[16:17], s[34:35]
	v_fma_f64 v[38:39], v[80:81], s[14:15], -v[38:39]
	v_fma_f64 v[12:13], v[26:27], s[18:19], v[12:13]
	v_add_f64 v[22:23], v[22:23], v[34:35]
	v_add_f64 v[26:27], v[68:69], v[42:43]
	;; [unrolled: 1-line block ×4, first 2 shown]
	v_fma_f64 v[42:43], v[74:75], s[34:35], v[20:21]
	v_fma_f64 v[60:61], v[14:15], s[36:37], v[76:77]
	v_add_f64 v[28:29], v[38:39], v[28:29]
	v_add_f64 v[12:13], v[12:13], v[24:25]
	v_mul_f64 v[24:25], v[64:65], s[10:11]
	v_mul_f64 v[38:39], v[16:17], s[6:7]
	v_fma_f64 v[20:21], v[74:75], s[34:35], -v[20:21]
	v_fma_f64 v[68:69], v[14:15], s[30:31], v[76:77]
	v_add_f64 v[42:43], v[42:43], v[44:45]
	v_add_f64 v[44:45], v[60:61], v[46:47]
	v_mul_f64 v[46:47], v[64:65], s[12:13]
	v_mul_f64 v[60:61], v[16:17], s[14:15]
	v_fma_f64 v[70:71], v[74:75], s[6:7], v[24:25]
	v_fma_f64 v[72:73], v[14:15], s[4:5], v[38:39]
	v_add_f64 v[20:21], v[20:21], v[54:55]
	v_add_f64 v[52:53], v[68:69], v[52:53]
	v_fma_f64 v[24:25], v[74:75], s[6:7], -v[24:25]
	v_fma_f64 v[38:39], v[14:15], s[10:11], v[38:39]
	v_fma_f64 v[54:55], v[74:75], s[14:15], v[46:47]
	;; [unrolled: 1-line block ×3, first 2 shown]
	v_fma_f64 v[46:47], v[74:75], s[14:15], -v[46:47]
	v_mul_f64 v[76:77], v[64:65], s[42:43]
	v_mul_f64 v[80:81], v[16:17], s[40:41]
	v_add_f64 v[70:71], v[70:71], v[84:85]
	v_add_f64 v[18:19], v[24:25], v[18:19]
	;; [unrolled: 1-line block ×5, first 2 shown]
	v_fma_f64 v[54:55], v[14:15], s[12:13], v[60:61]
	v_mul_f64 v[60:61], v[64:65], s[26:27]
	v_mul_f64 v[68:69], v[16:17], s[22:23]
	v_add_f64 v[46:47], v[46:47], v[62:63]
	v_fma_f64 v[56:57], v[74:75], s[40:41], v[76:77]
	v_fma_f64 v[76:77], v[74:75], s[40:41], -v[76:77]
	v_mul_f64 v[64:65], v[64:65], s[16:17]
	v_mul_f64 v[16:17], v[16:17], s[20:21]
	v_add_f64 v[54:55], v[54:55], v[66:67]
	v_fma_f64 v[62:63], v[74:75], s[22:23], v[60:61]
	v_fma_f64 v[66:67], v[14:15], s[28:29], v[68:69]
	v_fma_f64 v[60:61], v[74:75], s[22:23], -v[60:61]
	v_fma_f64 v[68:69], v[14:15], s[26:27], v[68:69]
	v_fma_f64 v[58:59], v[14:15], s[38:39], v[80:81]
	;; [unrolled: 1-line block ×3, first 2 shown]
	v_add_f64 v[56:57], v[56:57], v[78:79]
	v_add_f64 v[32:33], v[76:77], v[32:33]
	;; [unrolled: 1-line block ×4, first 2 shown]
	v_add_f64 v[62:63], v[8:9], -v[10:11]
	v_add_f64 v[66:67], v[8:9], v[10:11]
	v_add_f64 v[60:61], v[60:61], v[22:23]
	;; [unrolled: 1-line block ×3, first 2 shown]
	v_fma_f64 v[8:9], v[74:75], s[20:21], v[64:65]
	v_fma_f64 v[10:11], v[14:15], s[24:25], v[16:17]
	v_add_f64 v[76:77], v[4:5], v[6:7]
	v_add_f64 v[78:79], v[4:5], -v[6:7]
	v_mul_f64 v[4:5], v[62:63], s[38:39]
	v_mul_f64 v[6:7], v[66:67], s[40:41]
	v_fma_f64 v[22:23], v[74:75], s[20:21], -v[64:65]
	v_fma_f64 v[14:15], v[14:15], s[16:17], v[16:17]
	v_mul_f64 v[16:17], v[62:63], s[26:27]
	v_mul_f64 v[26:27], v[66:67], s[22:23]
	v_add_f64 v[72:73], v[72:73], v[86:87]
	v_add_f64 v[58:59], v[58:59], v[82:83]
	v_add_f64 v[36:37], v[80:81], v[36:37]
	v_add_f64 v[64:65], v[8:9], v[34:35]
	v_add_f64 v[74:75], v[10:11], v[40:41]
	v_fma_f64 v[8:9], v[76:77], s[40:41], v[4:5]
	v_fma_f64 v[10:11], v[78:79], s[42:43], v[6:7]
	v_add_f64 v[80:81], v[22:23], v[28:29]
	v_add_f64 v[82:83], v[14:15], v[12:13]
	v_fma_f64 v[12:13], v[76:77], s[40:41], -v[4:5]
	v_fma_f64 v[14:15], v[78:79], s[38:39], v[6:7]
	v_fma_f64 v[22:23], v[76:77], s[22:23], v[16:17]
	;; [unrolled: 1-line block ×3, first 2 shown]
	v_mul_f64 v[34:35], v[62:63], s[30:31]
	v_mul_f64 v[40:41], v[66:67], s[34:35]
	v_add_f64 v[4:5], v[8:9], v[42:43]
	v_add_f64 v[6:7], v[10:11], v[44:45]
	;; [unrolled: 1-line block ×6, first 2 shown]
	v_fma_f64 v[16:17], v[76:77], s[22:23], -v[16:17]
	v_fma_f64 v[20:21], v[78:79], s[26:27], v[26:27]
	v_fma_f64 v[22:23], v[76:77], s[34:35], v[34:35]
	;; [unrolled: 1-line block ×3, first 2 shown]
	v_mul_f64 v[28:29], v[62:63], s[18:19]
	v_mul_f64 v[42:43], v[66:67], s[14:15]
	v_fma_f64 v[34:35], v[76:77], s[34:35], -v[34:35]
	v_fma_f64 v[40:41], v[78:79], s[30:31], v[40:41]
	v_add_f64 v[16:17], v[16:17], v[18:19]
	v_add_f64 v[18:19], v[20:21], v[24:25]
	;; [unrolled: 1-line block ×4, first 2 shown]
	v_fma_f64 v[30:31], v[76:77], s[14:15], v[28:29]
	v_fma_f64 v[38:39], v[78:79], s[12:13], v[42:43]
	v_add_f64 v[24:25], v[34:35], v[46:47]
	v_add_f64 v[26:27], v[40:41], v[54:55]
	v_fma_f64 v[34:35], v[76:77], s[14:15], -v[28:29]
	v_fma_f64 v[40:41], v[78:79], s[18:19], v[42:43]
	v_mul_f64 v[42:43], v[62:63], s[16:17]
	v_mul_f64 v[44:45], v[66:67], s[20:21]
	v_add_f64 v[28:29], v[30:31], v[56:57]
	v_add_f64 v[30:31], v[38:39], v[58:59]
	v_mul_f64 v[38:39], v[62:63], s[10:11]
	v_mul_f64 v[46:47], v[66:67], s[6:7]
	v_add_f64 v[32:33], v[34:35], v[32:33]
	v_add_f64 v[34:35], v[40:41], v[36:37]
	v_fma_f64 v[36:37], v[76:77], s[20:21], v[42:43]
	v_fma_f64 v[40:41], v[78:79], s[24:25], v[44:45]
	v_fma_f64 v[42:43], v[76:77], s[20:21], -v[42:43]
	v_fma_f64 v[44:45], v[78:79], s[16:17], v[44:45]
	v_fma_f64 v[52:53], v[76:77], s[6:7], v[38:39]
	v_fma_f64 v[54:55], v[78:79], s[4:5], v[46:47]
	v_fma_f64 v[56:57], v[76:77], s[6:7], -v[38:39]
	v_fma_f64 v[58:59], v[78:79], s[10:11], v[46:47]
	v_add_f64 v[36:37], v[36:37], v[48:49]
	v_add_f64 v[38:39], v[40:41], v[50:51]
	;; [unrolled: 1-line block ×8, first 2 shown]
	ds_write_b128 v218, v[0:3]
	ds_write_b128 v218, v[4:7] offset:1632
	ds_write_b128 v218, v[12:15] offset:3264
	;; [unrolled: 1-line block ×12, first 2 shown]
	s_waitcnt lgkmcnt(0)
	s_barrier
	ds_read_b128 v[4:7], v113
	s_add_u32 s6, s8, 0x51d0
	s_addc_u32 s7, s9, 0
	v_sub_u32_e32 v12, v222, v221
                                        ; implicit-def: $vgpr2_vgpr3
                                        ; implicit-def: $vgpr8_vgpr9
                                        ; implicit-def: $vgpr10_vgpr11
	s_and_saveexec_b64 s[4:5], vcc
	s_xor_b64 s[4:5], exec, s[4:5]
	s_cbranch_execz .LBB0_19
; %bb.18:
	v_mov_b32_e32 v101, 0
	v_lshlrev_b64 v[0:1], 4, v[100:101]
	v_mov_b32_e32 v2, s7
	v_add_co_u32_e32 v0, vcc, s6, v0
	v_addc_co_u32_e32 v1, vcc, v2, v1, vcc
	global_load_dwordx4 v[0:3], v[0:1], off
	ds_read_b128 v[8:11], v12 offset:21216
                                        ; implicit-def: $vgpr222
	s_waitcnt lgkmcnt(0)
	v_add_f64 v[13:14], v[4:5], -v[8:9]
	v_add_f64 v[15:16], v[6:7], v[10:11]
	v_add_f64 v[6:7], v[6:7], -v[10:11]
	v_add_f64 v[4:5], v[4:5], v[8:9]
	v_mul_f64 v[10:11], v[13:14], 0.5
	v_mul_f64 v[13:14], v[15:16], 0.5
	;; [unrolled: 1-line block ×3, first 2 shown]
	s_waitcnt vmcnt(0)
	v_mul_f64 v[8:9], v[10:11], v[2:3]
	v_fma_f64 v[15:16], v[13:14], v[2:3], v[6:7]
	v_fma_f64 v[2:3], v[13:14], v[2:3], -v[6:7]
	v_fma_f64 v[17:18], v[4:5], 0.5, v[8:9]
	v_fma_f64 v[4:5], v[4:5], 0.5, -v[8:9]
	v_fma_f64 v[8:9], -v[0:1], v[10:11], v[15:16]
	v_fma_f64 v[2:3], -v[0:1], v[10:11], v[2:3]
	v_mov_b32_e32 v10, v100
	v_mov_b32_e32 v11, v101
	v_fma_f64 v[6:7], v[13:14], v[0:1], v[17:18]
	v_fma_f64 v[0:1], -v[13:14], v[0:1], v[4:5]
                                        ; implicit-def: $vgpr4_vgpr5
	ds_write_b64 v113, v[6:7]
.LBB0_19:
	s_andn2_saveexec_b64 s[4:5], s[4:5]
	s_cbranch_execz .LBB0_21
; %bb.20:
	s_waitcnt lgkmcnt(0)
	v_add_f64 v[2:3], v[4:5], v[6:7]
	ds_read_b64 v[13:14], v222 offset:10616
	v_add_f64 v[0:1], v[4:5], -v[6:7]
	v_mov_b32_e32 v8, 0
	v_mov_b32_e32 v10, 0
	;; [unrolled: 1-line block ×3, first 2 shown]
	s_waitcnt lgkmcnt(0)
	v_xor_b32_e32 v14, 0x80000000, v14
	ds_write_b64 v222, v[13:14] offset:10616
	ds_write_b64 v113, v[2:3]
	v_mov_b32_e32 v2, v8
	v_mov_b32_e32 v11, 0
	v_mov_b32_e32 v3, v9
.LBB0_21:
	s_or_b64 exec, exec, s[4:5]
	s_waitcnt lgkmcnt(0)
	v_lshlrev_b64 v[4:5], 4, v[10:11]
	v_mov_b32_e32 v7, s7
	v_add_co_u32_e32 v6, vcc, s6, v4
	v_addc_co_u32_e32 v7, vcc, v7, v5, vcc
	global_load_dwordx4 v[13:16], v[6:7], off offset:1632
	global_load_dwordx4 v[17:20], v[6:7], off offset:3264
	ds_write_b64 v113, v[8:9] offset:8
	ds_write_b128 v12, v[0:3] offset:21216
	ds_read_b128 v[0:3], v113 offset:1632
	ds_read_b128 v[8:11], v12 offset:19584
	s_movk_i32 s4, 0x1000
	v_add_co_u32_e32 v29, vcc, s4, v6
	v_addc_co_u32_e32 v30, vcc, 0, v7, vcc
	s_waitcnt lgkmcnt(0)
	v_add_f64 v[21:22], v[0:1], -v[8:9]
	v_add_f64 v[23:24], v[2:3], v[10:11]
	v_add_f64 v[2:3], v[2:3], -v[10:11]
	v_add_f64 v[0:1], v[0:1], v[8:9]
	v_cmp_gt_u32_e32 vcc, 51, v100
	v_mul_f64 v[21:22], v[21:22], 0.5
	v_mul_f64 v[23:24], v[23:24], 0.5
	v_mul_f64 v[2:3], v[2:3], 0.5
	s_waitcnt vmcnt(1)
	v_mul_f64 v[8:9], v[21:22], v[15:16]
	v_fma_f64 v[10:11], v[23:24], v[15:16], v[2:3]
	v_fma_f64 v[15:16], v[23:24], v[15:16], -v[2:3]
	v_fma_f64 v[25:26], v[0:1], 0.5, v[8:9]
	v_fma_f64 v[27:28], v[0:1], 0.5, -v[8:9]
	global_load_dwordx4 v[0:3], v[29:30], off offset:800
	v_fma_f64 v[10:11], -v[13:14], v[21:22], v[10:11]
	v_fma_f64 v[15:16], -v[13:14], v[21:22], v[15:16]
	v_fma_f64 v[8:9], v[23:24], v[13:14], v[25:26]
	v_fma_f64 v[13:14], -v[23:24], v[13:14], v[27:28]
	ds_write_b128 v113, v[8:11] offset:1632
	ds_write_b128 v12, v[13:16] offset:19584
	ds_read_b128 v[8:11], v113 offset:3264
	ds_read_b128 v[13:16], v12 offset:17952
	s_waitcnt lgkmcnt(0)
	v_add_f64 v[21:22], v[8:9], -v[13:14]
	v_add_f64 v[23:24], v[10:11], v[15:16]
	v_add_f64 v[10:11], v[10:11], -v[15:16]
	v_add_f64 v[8:9], v[8:9], v[13:14]
	v_mul_f64 v[21:22], v[21:22], 0.5
	v_mul_f64 v[23:24], v[23:24], 0.5
	v_mul_f64 v[10:11], v[10:11], 0.5
	s_waitcnt vmcnt(1)
	v_mul_f64 v[13:14], v[21:22], v[19:20]
	v_fma_f64 v[15:16], v[23:24], v[19:20], v[10:11]
	v_fma_f64 v[19:20], v[23:24], v[19:20], -v[10:11]
	v_fma_f64 v[25:26], v[8:9], 0.5, v[13:14]
	v_fma_f64 v[27:28], v[8:9], 0.5, -v[13:14]
	global_load_dwordx4 v[8:11], v[29:30], off offset:2432
	v_fma_f64 v[15:16], -v[17:18], v[21:22], v[15:16]
	v_fma_f64 v[19:20], -v[17:18], v[21:22], v[19:20]
	v_fma_f64 v[13:14], v[23:24], v[17:18], v[25:26]
	v_fma_f64 v[17:18], -v[23:24], v[17:18], v[27:28]
	ds_write_b128 v113, v[13:16] offset:3264
	ds_write_b128 v12, v[17:20] offset:17952
	ds_read_b128 v[13:16], v113 offset:4896
	ds_read_b128 v[17:20], v12 offset:16320
	s_waitcnt lgkmcnt(0)
	v_add_f64 v[21:22], v[13:14], -v[17:18]
	v_add_f64 v[23:24], v[15:16], v[19:20]
	v_add_f64 v[15:16], v[15:16], -v[19:20]
	v_add_f64 v[13:14], v[13:14], v[17:18]
	;; [unrolled: 23-line block ×3, first 2 shown]
	v_mul_f64 v[19:20], v[21:22], 0.5
	v_mul_f64 v[21:22], v[23:24], 0.5
	;; [unrolled: 1-line block ×3, first 2 shown]
	s_waitcnt vmcnt(1)
	v_mul_f64 v[17:18], v[19:20], v[10:11]
	v_fma_f64 v[23:24], v[21:22], v[10:11], v[2:3]
	v_fma_f64 v[10:11], v[21:22], v[10:11], -v[2:3]
	v_fma_f64 v[25:26], v[0:1], 0.5, v[17:18]
	v_fma_f64 v[17:18], v[0:1], 0.5, -v[17:18]
	v_fma_f64 v[2:3], -v[8:9], v[19:20], v[23:24]
	v_fma_f64 v[10:11], -v[8:9], v[19:20], v[10:11]
	v_fma_f64 v[0:1], v[21:22], v[8:9], v[25:26]
	v_fma_f64 v[8:9], -v[21:22], v[8:9], v[17:18]
	ds_write_b128 v113, v[0:3] offset:6528
	ds_write_b128 v12, v[8:11] offset:14688
	ds_read_b128 v[0:3], v113 offset:8160
	ds_read_b128 v[8:11], v12 offset:13056
	s_waitcnt lgkmcnt(0)
	v_add_f64 v[17:18], v[0:1], -v[8:9]
	v_add_f64 v[19:20], v[2:3], v[10:11]
	v_add_f64 v[2:3], v[2:3], -v[10:11]
	v_add_f64 v[0:1], v[0:1], v[8:9]
	v_mul_f64 v[10:11], v[17:18], 0.5
	v_mul_f64 v[17:18], v[19:20], 0.5
	;; [unrolled: 1-line block ×3, first 2 shown]
	s_waitcnt vmcnt(0)
	v_mul_f64 v[8:9], v[10:11], v[15:16]
	v_fma_f64 v[19:20], v[17:18], v[15:16], v[2:3]
	v_fma_f64 v[15:16], v[17:18], v[15:16], -v[2:3]
	v_fma_f64 v[21:22], v[0:1], 0.5, v[8:9]
	v_fma_f64 v[8:9], v[0:1], 0.5, -v[8:9]
	v_fma_f64 v[2:3], -v[13:14], v[10:11], v[19:20]
	v_fma_f64 v[10:11], -v[13:14], v[10:11], v[15:16]
	v_fma_f64 v[0:1], v[17:18], v[13:14], v[21:22]
	v_fma_f64 v[8:9], -v[17:18], v[13:14], v[8:9]
	ds_write_b128 v113, v[0:3] offset:8160
	ds_write_b128 v12, v[8:11] offset:13056
	s_and_saveexec_b64 s[4:5], vcc
	s_cbranch_execz .LBB0_23
; %bb.22:
	s_movk_i32 s6, 0x2000
	v_add_co_u32_e32 v0, vcc, s6, v6
	v_addc_co_u32_e32 v1, vcc, 0, v7, vcc
	global_load_dwordx4 v[0:3], v[0:1], off offset:1600
	ds_read_b128 v[6:9], v113 offset:9792
	ds_read_b128 v[13:16], v12 offset:11424
	s_waitcnt lgkmcnt(0)
	v_add_f64 v[10:11], v[6:7], -v[13:14]
	v_add_f64 v[17:18], v[8:9], v[15:16]
	v_add_f64 v[8:9], v[8:9], -v[15:16]
	v_add_f64 v[6:7], v[6:7], v[13:14]
	v_mul_f64 v[10:11], v[10:11], 0.5
	v_mul_f64 v[15:16], v[17:18], 0.5
	v_mul_f64 v[8:9], v[8:9], 0.5
	s_waitcnt vmcnt(0)
	v_mul_f64 v[13:14], v[10:11], v[2:3]
	v_fma_f64 v[17:18], v[15:16], v[2:3], v[8:9]
	v_fma_f64 v[2:3], v[15:16], v[2:3], -v[8:9]
	v_fma_f64 v[19:20], v[6:7], 0.5, v[13:14]
	v_fma_f64 v[13:14], v[6:7], 0.5, -v[13:14]
	v_fma_f64 v[8:9], -v[0:1], v[10:11], v[17:18]
	v_fma_f64 v[2:3], -v[0:1], v[10:11], v[2:3]
	v_fma_f64 v[6:7], v[15:16], v[0:1], v[19:20]
	v_fma_f64 v[0:1], -v[15:16], v[0:1], v[13:14]
	ds_write_b128 v113, v[6:9] offset:9792
	ds_write_b128 v12, v[0:3] offset:11424
.LBB0_23:
	s_or_b64 exec, exec, s[4:5]
	s_waitcnt lgkmcnt(0)
	s_barrier
	s_and_saveexec_b64 s[4:5], s[0:1]
	s_cbranch_execz .LBB0_26
; %bb.24:
	ds_read_b128 v[6:9], v113
	ds_read_b128 v[10:13], v113 offset:1632
	ds_read_b128 v[14:17], v113 offset:3264
	v_mov_b32_e32 v0, s3
	v_add_co_u32_e32 v1, vcc, s2, v219
	v_addc_co_u32_e32 v0, vcc, v0, v220, vcc
	v_add_co_u32_e32 v18, vcc, v1, v4
	v_addc_co_u32_e32 v19, vcc, v0, v5, vcc
	s_waitcnt lgkmcnt(2)
	global_store_dwordx4 v[18:19], v[6:9], off
	s_waitcnt lgkmcnt(1)
	global_store_dwordx4 v[18:19], v[10:13], off offset:1632
	s_waitcnt lgkmcnt(0)
	global_store_dwordx4 v[18:19], v[14:17], off offset:3264
	ds_read_b128 v[2:5], v113 offset:4896
	ds_read_b128 v[6:9], v113 offset:6528
	;; [unrolled: 1-line block ×3, first 2 shown]
	v_add_co_u32_e32 v14, vcc, 0x1000, v18
	v_addc_co_u32_e32 v15, vcc, 0, v19, vcc
	s_waitcnt lgkmcnt(2)
	global_store_dwordx4 v[14:15], v[2:5], off offset:800
	s_waitcnt lgkmcnt(1)
	global_store_dwordx4 v[14:15], v[6:9], off offset:2432
	;; [unrolled: 2-line block ×3, first 2 shown]
	ds_read_b128 v[2:5], v113 offset:9792
	ds_read_b128 v[6:9], v113 offset:11424
	v_add_co_u32_e32 v10, vcc, 0x2000, v18
	v_addc_co_u32_e32 v11, vcc, 0, v19, vcc
	s_waitcnt lgkmcnt(1)
	global_store_dwordx4 v[10:11], v[2:5], off offset:1600
	s_waitcnt lgkmcnt(0)
	global_store_dwordx4 v[10:11], v[6:9], off offset:3232
	ds_read_b128 v[2:5], v113 offset:13056
	ds_read_b128 v[6:9], v113 offset:14688
	;; [unrolled: 1-line block ×3, first 2 shown]
	v_add_co_u32_e32 v14, vcc, 0x3000, v18
	v_addc_co_u32_e32 v15, vcc, 0, v19, vcc
	s_waitcnt lgkmcnt(2)
	global_store_dwordx4 v[14:15], v[2:5], off offset:768
	s_waitcnt lgkmcnt(1)
	global_store_dwordx4 v[14:15], v[6:9], off offset:2400
	ds_read_b128 v[2:5], v113 offset:17952
	ds_read_b128 v[6:9], v113 offset:19584
	s_waitcnt lgkmcnt(2)
	global_store_dwordx4 v[14:15], v[10:13], off offset:4032
	s_movk_i32 s0, 0x65
	v_add_co_u32_e32 v10, vcc, 0x4000, v18
	v_addc_co_u32_e32 v11, vcc, 0, v19, vcc
	v_cmp_eq_u32_e32 vcc, s0, v100
	s_waitcnt lgkmcnt(1)
	global_store_dwordx4 v[10:11], v[2:5], off offset:1568
	s_waitcnt lgkmcnt(0)
	global_store_dwordx4 v[10:11], v[6:9], off offset:3200
	s_and_b64 exec, exec, vcc
	s_cbranch_execz .LBB0_26
; %bb.25:
	ds_read_b128 v[2:5], v113 offset:19600
	v_add_co_u32_e32 v6, vcc, 0x5000, v1
	v_addc_co_u32_e32 v7, vcc, 0, v0, vcc
	s_waitcnt lgkmcnt(0)
	global_store_dwordx4 v[6:7], v[2:5], off offset:736
.LBB0_26:
	s_endpgm
	.section	.rodata,"a",@progbits
	.p2align	6, 0x0
	.amdhsa_kernel fft_rtc_back_len1326_factors_17_6_13_wgs_204_tpt_102_halfLds_dp_ip_CI_unitstride_sbrr_R2C_dirReg
		.amdhsa_group_segment_fixed_size 0
		.amdhsa_private_segment_fixed_size 456
		.amdhsa_kernarg_size 88
		.amdhsa_user_sgpr_count 6
		.amdhsa_user_sgpr_private_segment_buffer 1
		.amdhsa_user_sgpr_dispatch_ptr 0
		.amdhsa_user_sgpr_queue_ptr 0
		.amdhsa_user_sgpr_kernarg_segment_ptr 1
		.amdhsa_user_sgpr_dispatch_id 0
		.amdhsa_user_sgpr_flat_scratch_init 0
		.amdhsa_user_sgpr_private_segment_size 0
		.amdhsa_uses_dynamic_stack 0
		.amdhsa_system_sgpr_private_segment_wavefront_offset 1
		.amdhsa_system_sgpr_workgroup_id_x 1
		.amdhsa_system_sgpr_workgroup_id_y 0
		.amdhsa_system_sgpr_workgroup_id_z 0
		.amdhsa_system_sgpr_workgroup_info 0
		.amdhsa_system_vgpr_workitem_id 0
		.amdhsa_next_free_vgpr 256
		.amdhsa_next_free_sgpr 64
		.amdhsa_reserve_vcc 1
		.amdhsa_reserve_flat_scratch 0
		.amdhsa_float_round_mode_32 0
		.amdhsa_float_round_mode_16_64 0
		.amdhsa_float_denorm_mode_32 3
		.amdhsa_float_denorm_mode_16_64 3
		.amdhsa_dx10_clamp 1
		.amdhsa_ieee_mode 1
		.amdhsa_fp16_overflow 0
		.amdhsa_exception_fp_ieee_invalid_op 0
		.amdhsa_exception_fp_denorm_src 0
		.amdhsa_exception_fp_ieee_div_zero 0
		.amdhsa_exception_fp_ieee_overflow 0
		.amdhsa_exception_fp_ieee_underflow 0
		.amdhsa_exception_fp_ieee_inexact 0
		.amdhsa_exception_int_div_zero 0
	.end_amdhsa_kernel
	.text
.Lfunc_end0:
	.size	fft_rtc_back_len1326_factors_17_6_13_wgs_204_tpt_102_halfLds_dp_ip_CI_unitstride_sbrr_R2C_dirReg, .Lfunc_end0-fft_rtc_back_len1326_factors_17_6_13_wgs_204_tpt_102_halfLds_dp_ip_CI_unitstride_sbrr_R2C_dirReg
                                        ; -- End function
	.section	.AMDGPU.csdata,"",@progbits
; Kernel info:
; codeLenInByte = 19180
; NumSgprs: 68
; NumVgprs: 256
; ScratchSize: 456
; MemoryBound: 0
; FloatMode: 240
; IeeeMode: 1
; LDSByteSize: 0 bytes/workgroup (compile time only)
; SGPRBlocks: 8
; VGPRBlocks: 63
; NumSGPRsForWavesPerEU: 68
; NumVGPRsForWavesPerEU: 256
; Occupancy: 1
; WaveLimiterHint : 1
; COMPUTE_PGM_RSRC2:SCRATCH_EN: 1
; COMPUTE_PGM_RSRC2:USER_SGPR: 6
; COMPUTE_PGM_RSRC2:TRAP_HANDLER: 0
; COMPUTE_PGM_RSRC2:TGID_X_EN: 1
; COMPUTE_PGM_RSRC2:TGID_Y_EN: 0
; COMPUTE_PGM_RSRC2:TGID_Z_EN: 0
; COMPUTE_PGM_RSRC2:TIDIG_COMP_CNT: 0
	.type	__hip_cuid_2dad48f75102b36,@object ; @__hip_cuid_2dad48f75102b36
	.section	.bss,"aw",@nobits
	.globl	__hip_cuid_2dad48f75102b36
__hip_cuid_2dad48f75102b36:
	.byte	0                               ; 0x0
	.size	__hip_cuid_2dad48f75102b36, 1

	.ident	"AMD clang version 19.0.0git (https://github.com/RadeonOpenCompute/llvm-project roc-6.4.0 25133 c7fe45cf4b819c5991fe208aaa96edf142730f1d)"
	.section	".note.GNU-stack","",@progbits
	.addrsig
	.addrsig_sym __hip_cuid_2dad48f75102b36
	.amdgpu_metadata
---
amdhsa.kernels:
  - .args:
      - .actual_access:  read_only
        .address_space:  global
        .offset:         0
        .size:           8
        .value_kind:     global_buffer
      - .offset:         8
        .size:           8
        .value_kind:     by_value
      - .actual_access:  read_only
        .address_space:  global
        .offset:         16
        .size:           8
        .value_kind:     global_buffer
      - .actual_access:  read_only
        .address_space:  global
        .offset:         24
        .size:           8
        .value_kind:     global_buffer
      - .offset:         32
        .size:           8
        .value_kind:     by_value
      - .actual_access:  read_only
        .address_space:  global
        .offset:         40
        .size:           8
        .value_kind:     global_buffer
      - .actual_access:  read_only
        .address_space:  global
        .offset:         48
        .size:           8
        .value_kind:     global_buffer
      - .offset:         56
        .size:           4
        .value_kind:     by_value
      - .actual_access:  read_only
        .address_space:  global
        .offset:         64
        .size:           8
        .value_kind:     global_buffer
      - .actual_access:  read_only
        .address_space:  global
        .offset:         72
        .size:           8
        .value_kind:     global_buffer
      - .address_space:  global
        .offset:         80
        .size:           8
        .value_kind:     global_buffer
    .group_segment_fixed_size: 0
    .kernarg_segment_align: 8
    .kernarg_segment_size: 88
    .language:       OpenCL C
    .language_version:
      - 2
      - 0
    .max_flat_workgroup_size: 204
    .name:           fft_rtc_back_len1326_factors_17_6_13_wgs_204_tpt_102_halfLds_dp_ip_CI_unitstride_sbrr_R2C_dirReg
    .private_segment_fixed_size: 456
    .sgpr_count:     68
    .sgpr_spill_count: 0
    .symbol:         fft_rtc_back_len1326_factors_17_6_13_wgs_204_tpt_102_halfLds_dp_ip_CI_unitstride_sbrr_R2C_dirReg.kd
    .uniform_work_group_size: 1
    .uses_dynamic_stack: false
    .vgpr_count:     256
    .vgpr_spill_count: 113
    .wavefront_size: 64
amdhsa.target:   amdgcn-amd-amdhsa--gfx906
amdhsa.version:
  - 1
  - 2
...

	.end_amdgpu_metadata
